;; amdgpu-corpus repo=ROCm/rocFFT kind=compiled arch=gfx1201 opt=O3
	.text
	.amdgcn_target "amdgcn-amd-amdhsa--gfx1201"
	.amdhsa_code_object_version 6
	.protected	fft_rtc_back_len168_factors_2_7_6_2_wgs_168_tpt_14_halfLds_dim2_dp_ip_CI_sbcc_twdbase6_3step_dirReg_intrinsicReadWrite ; -- Begin function fft_rtc_back_len168_factors_2_7_6_2_wgs_168_tpt_14_halfLds_dim2_dp_ip_CI_sbcc_twdbase6_3step_dirReg_intrinsicReadWrite
	.globl	fft_rtc_back_len168_factors_2_7_6_2_wgs_168_tpt_14_halfLds_dim2_dp_ip_CI_sbcc_twdbase6_3step_dirReg_intrinsicReadWrite
	.p2align	8
	.type	fft_rtc_back_len168_factors_2_7_6_2_wgs_168_tpt_14_halfLds_dim2_dp_ip_CI_sbcc_twdbase6_3step_dirReg_intrinsicReadWrite,@function
fft_rtc_back_len168_factors_2_7_6_2_wgs_168_tpt_14_halfLds_dim2_dp_ip_CI_sbcc_twdbase6_3step_dirReg_intrinsicReadWrite: ; @fft_rtc_back_len168_factors_2_7_6_2_wgs_168_tpt_14_halfLds_dim2_dp_ip_CI_sbcc_twdbase6_3step_dirReg_intrinsicReadWrite
; %bb.0:
	s_clause 0x2
	s_load_b64 s[2:3], s[0:1], 0x50
	s_load_b64 s[8:9], s[0:1], 0x0
	s_load_b128 s[4:7], s[0:1], 0x10
	s_mov_b32 s10, exec_lo
	v_cmpx_gt_u32_e32 0xc0, v0
	s_cbranch_execz .LBB0_3
; %bb.1:
	s_load_b64 s[0:1], s[0:1], 0x8
	v_lshlrev_b32_e32 v5, 4, v0
	v_add_co_u32 v1, s11, 0xffffff58, v0
	s_delay_alu instid0(VALU_DEP_1) | instskip(SKIP_1) | instid1(VALU_DEP_3)
	v_add_co_ci_u32_e64 v2, null, 0, -1, s11
	s_wait_kmcnt 0x0
	v_add_co_u32 v3, s0, s0, v5
	s_wait_alu 0xf1ff
	v_add_co_ci_u32_e64 v4, null, s1, 0, s0
	v_add3_u32 v5, v5, 0, 0x3f00
	s_mov_b32 s1, 0
.LBB0_2:                                ; =>This Inner Loop Header: Depth=1
	global_load_b128 v[6:9], v[3:4], off
	v_add_co_u32 v1, vcc_lo, 0xa8, v1
	s_wait_alu 0xfffd
	v_add_co_ci_u32_e32 v2, vcc_lo, 0, v2, vcc_lo
	v_add_co_u32 v3, vcc_lo, 0xa80, v3
	s_wait_alu 0xfffd
	v_add_co_ci_u32_e32 v4, vcc_lo, 0, v4, vcc_lo
	s_delay_alu instid0(VALU_DEP_3) | instskip(SKIP_1) | instid1(VALU_DEP_1)
	v_cmp_lt_u64_e64 s0, 23, v[1:2]
	s_wait_alu 0xfffe
	s_or_b32 s1, s0, s1
	s_wait_loadcnt 0x0
	ds_store_2addr_b64 v5, v[6:7], v[8:9] offset1:1
	v_add_nc_u32_e32 v5, 0xa80, v5
	s_wait_alu 0xfffe
	s_and_not1_b32 exec_lo, exec_lo, s1
	s_cbranch_execnz .LBB0_2
.LBB0_3:
	s_or_b32 exec_lo, exec_lo, s10
	s_mov_b32 s11, 0
	s_mov_b32 s0, 0x55540000
	s_movk_i32 s1, 0x55
	s_wait_alu 0xfffe
	s_mov_b32 s10, s11
	s_wait_kmcnt 0x0
	s_load_b64 s[4:5], s[4:5], 0x8
	s_add_nc_u64 s[0:1], s[10:11], s[0:1]
	s_wait_alu 0xfffe
	s_add_co_i32 s1, s1, 0x15555500
	s_wait_alu 0xfffe
	s_mul_u64 s[12:13], s[0:1], -12
	s_delay_alu instid0(SALU_CYCLE_1)
	s_mul_hi_u32 s15, s0, s13
	s_mul_i32 s14, s0, s13
	s_mul_hi_u32 s10, s0, s12
	s_mul_hi_u32 s16, s1, s12
	s_mul_i32 s12, s1, s12
	s_wait_alu 0xfffe
	s_add_nc_u64 s[14:15], s[10:11], s[14:15]
	s_mul_hi_u32 s17, s1, s13
	s_add_co_u32 s10, s14, s12
	s_add_co_ci_u32 s10, s15, s16
	s_add_co_ci_u32 s15, s17, 0
	s_mul_i32 s14, s1, s13
	s_wait_alu 0xfffe
	s_add_nc_u64 s[12:13], s[10:11], s[14:15]
	s_wait_kmcnt 0x0
	s_add_nc_u64 s[14:15], s[4:5], -1
	v_add_co_u32 v1, s0, s0, s12
	s_delay_alu instid0(VALU_DEP_1) | instskip(SKIP_1) | instid1(VALU_DEP_1)
	s_cmp_lg_u32 s0, 0
	s_add_co_ci_u32 s10, s1, s13
	v_readfirstlane_b32 s13, v1
	s_wait_alu 0xfffe
	s_mul_hi_u32 s1, s14, s10
	s_mul_i32 s0, s14, s10
	s_mul_hi_u32 s16, s15, s10
	s_mul_i32 s12, s15, s10
	;; [unrolled: 2-line block ×3, first 2 shown]
	s_wait_alu 0xfffe
	s_add_nc_u64 s[0:1], s[10:11], s[0:1]
	s_mul_hi_u32 s10, s15, s13
	s_wait_alu 0xfffe
	s_add_co_u32 s0, s0, s17
	s_add_co_ci_u32 s10, s1, s10
	s_add_co_ci_u32 s13, s16, 0
	s_wait_alu 0xfffe
	s_add_nc_u64 s[12:13], s[10:11], s[12:13]
	s_wait_alu 0xfffe
	s_mul_u64 s[0:1], s[12:13], 12
	s_wait_alu 0xfffe
	v_sub_co_u32 v1, s0, s14, s0
	s_delay_alu instid0(VALU_DEP_1) | instskip(SKIP_1) | instid1(VALU_DEP_1)
	s_cmp_lg_u32 s0, 0
	s_sub_co_ci_u32 s16, s15, s1
	v_sub_co_u32 v2, s10, v1, 12
	s_delay_alu instid0(VALU_DEP_1) | instskip(SKIP_2) | instid1(VALU_DEP_1)
	s_cmp_lg_u32 s10, 0
	s_add_nc_u64 s[14:15], s[12:13], 2
	s_sub_co_ci_u32 s10, s16, 0
	v_readfirstlane_b32 s0, v2
	s_delay_alu instid0(VALU_DEP_1)
	s_cmp_gt_u32 s0, 11
	s_add_nc_u64 s[0:1], s[12:13], 1
	s_cselect_b32 s17, -1, 0
	s_wait_alu 0xfffe
	s_cmp_eq_u32 s10, 0
	s_cselect_b32 s10, s17, -1
	v_readfirstlane_b32 s17, v1
	s_wait_alu 0xfffe
	s_cmp_lg_u32 s10, 0
	s_cselect_b32 s10, s14, s0
	s_cselect_b32 s14, s15, s1
	s_cmp_gt_u32 s17, 11
	s_cselect_b32 s0, -1, 0
	s_cmp_eq_u32 s16, 0
	s_wait_alu 0xfffe
	s_cselect_b32 s15, s0, -1
	s_load_b64 s[0:1], s[6:7], 0x0
	s_cmp_lg_u32 s15, 0
	s_cselect_b32 s13, s14, s13
	s_cselect_b32 s12, s10, s12
	s_mov_b32 s10, ttmp9
	s_wait_alu 0xfffe
	s_add_nc_u64 s[12:13], s[12:13], 1
	s_mov_b64 s[14:15], 0
	s_wait_kmcnt 0x0
	s_wait_alu 0xfffe
	v_cmp_lt_u64_e64 s1, s[10:11], s[12:13]
	s_delay_alu instid0(VALU_DEP_1)
	s_and_b32 vcc_lo, exec_lo, s1
	s_wait_alu 0xfffe
	s_cbranch_vccnz .LBB0_5
; %bb.4:
	v_cvt_f32_u32_e32 v1, s12
	s_sub_co_i32 s14, 0, s12
	s_delay_alu instid0(VALU_DEP_1) | instskip(NEXT) | instid1(TRANS32_DEP_1)
	v_rcp_iflag_f32_e32 v1, v1
	v_mul_f32_e32 v1, 0x4f7ffffe, v1
	s_delay_alu instid0(VALU_DEP_1) | instskip(NEXT) | instid1(VALU_DEP_1)
	v_cvt_u32_f32_e32 v1, v1
	v_readfirstlane_b32 s1, v1
	s_wait_alu 0xfffe
	s_delay_alu instid0(VALU_DEP_1)
	s_mul_i32 s14, s14, s1
	s_wait_alu 0xfffe
	s_mul_hi_u32 s14, s1, s14
	s_wait_alu 0xfffe
	s_add_co_i32 s1, s1, s14
	s_wait_alu 0xfffe
	s_mul_hi_u32 s1, s10, s1
	s_wait_alu 0xfffe
	s_mul_i32 s14, s1, s12
	s_add_co_i32 s15, s1, 1
	s_wait_alu 0xfffe
	s_sub_co_i32 s14, s10, s14
	s_wait_alu 0xfffe
	s_sub_co_i32 s16, s14, s12
	s_cmp_ge_u32 s14, s12
	s_cselect_b32 s1, s15, s1
	s_cselect_b32 s14, s16, s14
	s_wait_alu 0xfffe
	s_add_co_i32 s15, s1, 1
	s_cmp_ge_u32 s14, s12
	s_wait_alu 0xfffe
	s_cselect_b32 s14, s15, s1
	s_mov_b32 s15, s11
.LBB0_5:
	s_load_b128 s[16:19], s[6:7], 0x8
	v_mul_hi_u32 v77, 0x15555556, v0
	s_mul_u64 s[6:7], s[14:15], s[12:13]
	v_mov_b32_e32 v7, 0
	s_sub_nc_u64 s[6:7], s[10:11], s[6:7]
	s_delay_alu instid0(SALU_CYCLE_1) | instskip(NEXT) | instid1(SALU_CYCLE_1)
	s_mul_u64 s[6:7], s[6:7], 12
	s_add_nc_u64 s[10:11], s[6:7], 12
	s_delay_alu instid0(VALU_DEP_2) | instskip(SKIP_2) | instid1(VALU_DEP_2)
	v_mul_u32_u24_e32 v1, 12, v77
	s_wait_alu 0xfffe
	v_cmp_le_u64_e64 s1, s[10:11], s[4:5]
	v_sub_nc_u32_e32 v59, v0, v1
	s_wait_kmcnt 0x0
	s_delay_alu instid0(VALU_DEP_1) | instskip(NEXT) | instid1(VALU_DEP_1)
	v_mad_co_u64_u32 v[49:50], null, s16, v59, 0
	v_dual_mov_b32 v8, 0 :: v_dual_mov_b32 v1, v50
	v_add_co_u32 v50, s10, s6, v59
	s_wait_alu 0xf1ff
	v_add_co_ci_u32_e64 v51, null, s7, 0, s10
	s_delay_alu instid0(VALU_DEP_3) | instskip(SKIP_1) | instid1(VALU_DEP_3)
	v_mad_co_u64_u32 v[1:2], null, s17, v59, v[1:2]
	v_mov_b32_e32 v3, v7
	v_cmp_gt_u64_e32 vcc_lo, s[4:5], v[50:51]
	v_dual_mov_b32 v1, v7 :: v_dual_mov_b32 v2, v8
	v_dual_mov_b32 v5, 0 :: v_dual_mov_b32 v4, v8
	s_mul_u64 s[6:7], s[6:7], s[16:17]
	s_mul_u64 s[10:11], s[18:19], s[14:15]
	s_or_b32 s1, s1, vcc_lo
	s_wait_alu 0xfffe
	s_add_nc_u64 s[4:5], s[10:11], s[6:7]
	s_and_saveexec_b32 s5, s1
	s_cbranch_execz .LBB0_7
; %bb.6:
	v_mul_lo_u32 v1, s0, v77
	s_wait_alu 0xfffe
	s_delay_alu instid0(VALU_DEP_1) | instskip(NEXT) | instid1(VALU_DEP_1)
	v_add3_u32 v4, s4, v49, v1
	v_lshlrev_b64_e32 v[1:2], 4, v[4:5]
	s_delay_alu instid0(VALU_DEP_1) | instskip(SKIP_1) | instid1(VALU_DEP_2)
	v_add_co_u32 v1, vcc_lo, s2, v1
	s_wait_alu 0xfffd
	v_add_co_ci_u32_e32 v2, vcc_lo, s3, v2, vcc_lo
	global_load_b128 v[1:4], v[1:2], off
.LBB0_7:
	s_wait_alu 0xfffe
	s_or_b32 exec_lo, exec_lo, s5
	v_dual_mov_b32 v5, v7 :: v_dual_add_nc_u32 v78, 0x54, v77
	v_mov_b32_e32 v6, v8
	s_and_saveexec_b32 s5, s1
	s_cbranch_execz .LBB0_9
; %bb.8:
	s_delay_alu instid0(VALU_DEP_2) | instskip(SKIP_1) | instid1(VALU_DEP_2)
	v_mul_lo_u32 v5, s0, v78
	v_mov_b32_e32 v6, 0
	v_add3_u32 v5, s4, v49, v5
	s_delay_alu instid0(VALU_DEP_1) | instskip(NEXT) | instid1(VALU_DEP_1)
	v_lshlrev_b64_e32 v[5:6], 4, v[5:6]
	v_add_co_u32 v5, vcc_lo, s2, v5
	s_wait_alu 0xfffd
	s_delay_alu instid0(VALU_DEP_2)
	v_add_co_ci_u32_e32 v6, vcc_lo, s3, v6, vcc_lo
	global_load_b128 v[5:8], v[5:6], off
.LBB0_9:
	s_wait_alu 0xfffe
	s_or_b32 exec_lo, exec_lo, s5
	v_mov_b32_e32 v15, 0
	v_dual_mov_b32 v16, 0 :: v_dual_add_nc_u32 v79, 14, v77
	s_delay_alu instid0(VALU_DEP_2) | instskip(NEXT) | instid1(VALU_DEP_2)
	v_mov_b32_e32 v11, v15
	v_dual_mov_b32 v9, v15 :: v_dual_mov_b32 v10, v16
	v_mov_b32_e32 v12, v16
	s_and_saveexec_b32 s5, s1
	s_cbranch_execz .LBB0_11
; %bb.10:
	v_mul_lo_u32 v9, s0, v79
	v_mov_b32_e32 v10, 0
	s_delay_alu instid0(VALU_DEP_2) | instskip(NEXT) | instid1(VALU_DEP_1)
	v_add3_u32 v9, s4, v49, v9
	v_lshlrev_b64_e32 v[9:10], 4, v[9:10]
	s_delay_alu instid0(VALU_DEP_1) | instskip(SKIP_1) | instid1(VALU_DEP_2)
	v_add_co_u32 v9, vcc_lo, s2, v9
	s_wait_alu 0xfffd
	v_add_co_ci_u32_e32 v10, vcc_lo, s3, v10, vcc_lo
	global_load_b128 v[9:12], v[9:10], off
.LBB0_11:
	s_wait_alu 0xfffe
	s_or_b32 exec_lo, exec_lo, s5
	v_dual_mov_b32 v13, v15 :: v_dual_mov_b32 v14, v16
	s_and_saveexec_b32 s5, s1
	s_cbranch_execz .LBB0_13
; %bb.12:
	v_dual_mov_b32 v14, 0 :: v_dual_add_nc_u32 v13, 0x62, v77
	s_delay_alu instid0(VALU_DEP_1) | instskip(NEXT) | instid1(VALU_DEP_1)
	v_mul_lo_u32 v13, s0, v13
	v_add3_u32 v13, s4, v49, v13
	s_delay_alu instid0(VALU_DEP_1) | instskip(NEXT) | instid1(VALU_DEP_1)
	v_lshlrev_b64_e32 v[13:14], 4, v[13:14]
	v_add_co_u32 v13, vcc_lo, s2, v13
	s_wait_alu 0xfffd
	s_delay_alu instid0(VALU_DEP_2)
	v_add_co_ci_u32_e32 v14, vcc_lo, s3, v14, vcc_lo
	global_load_b128 v[13:16], v[13:14], off
.LBB0_13:
	s_wait_alu 0xfffe
	s_or_b32 exec_lo, exec_lo, s5
	v_dual_mov_b32 v23, 0 :: v_dual_add_nc_u32 v80, 28, v77
	v_mov_b32_e32 v24, 0
	s_delay_alu instid0(VALU_DEP_2) | instskip(NEXT) | instid1(VALU_DEP_2)
	v_mov_b32_e32 v19, v23
	v_dual_mov_b32 v17, v23 :: v_dual_mov_b32 v18, v24
	v_mov_b32_e32 v20, v24
	s_and_saveexec_b32 s5, s1
	s_cbranch_execz .LBB0_15
; %bb.14:
	v_mul_lo_u32 v17, s0, v80
	v_mov_b32_e32 v18, 0
	s_delay_alu instid0(VALU_DEP_2) | instskip(NEXT) | instid1(VALU_DEP_1)
	v_add3_u32 v17, s4, v49, v17
	v_lshlrev_b64_e32 v[17:18], 4, v[17:18]
	s_delay_alu instid0(VALU_DEP_1) | instskip(SKIP_1) | instid1(VALU_DEP_2)
	v_add_co_u32 v17, vcc_lo, s2, v17
	s_wait_alu 0xfffd
	v_add_co_ci_u32_e32 v18, vcc_lo, s3, v18, vcc_lo
	global_load_b128 v[17:20], v[17:18], off
.LBB0_15:
	s_wait_alu 0xfffe
	s_or_b32 exec_lo, exec_lo, s5
	v_dual_mov_b32 v21, v23 :: v_dual_mov_b32 v22, v24
	s_and_saveexec_b32 s5, s1
	s_cbranch_execz .LBB0_17
; %bb.16:
	v_dual_mov_b32 v22, 0 :: v_dual_add_nc_u32 v21, 0x70, v77
	s_delay_alu instid0(VALU_DEP_1) | instskip(NEXT) | instid1(VALU_DEP_1)
	v_mul_lo_u32 v21, s0, v21
	v_add3_u32 v21, s4, v49, v21
	s_delay_alu instid0(VALU_DEP_1) | instskip(NEXT) | instid1(VALU_DEP_1)
	v_lshlrev_b64_e32 v[21:22], 4, v[21:22]
	v_add_co_u32 v21, vcc_lo, s2, v21
	s_wait_alu 0xfffd
	s_delay_alu instid0(VALU_DEP_2)
	v_add_co_ci_u32_e32 v22, vcc_lo, s3, v22, vcc_lo
	global_load_b128 v[21:24], v[21:22], off
.LBB0_17:
	s_wait_alu 0xfffe
	s_or_b32 exec_lo, exec_lo, s5
	v_mov_b32_e32 v31, 0
	v_dual_mov_b32 v32, 0 :: v_dual_add_nc_u32 v81, 42, v77
	s_delay_alu instid0(VALU_DEP_2) | instskip(NEXT) | instid1(VALU_DEP_2)
	v_mov_b32_e32 v27, v31
	v_dual_mov_b32 v25, v31 :: v_dual_mov_b32 v26, v32
	v_mov_b32_e32 v28, v32
	s_and_saveexec_b32 s5, s1
	s_cbranch_execz .LBB0_19
; %bb.18:
	v_mul_lo_u32 v25, s0, v81
	v_mov_b32_e32 v26, 0
	s_delay_alu instid0(VALU_DEP_2) | instskip(NEXT) | instid1(VALU_DEP_1)
	v_add3_u32 v25, s4, v49, v25
	v_lshlrev_b64_e32 v[25:26], 4, v[25:26]
	s_delay_alu instid0(VALU_DEP_1) | instskip(SKIP_1) | instid1(VALU_DEP_2)
	v_add_co_u32 v25, vcc_lo, s2, v25
	s_wait_alu 0xfffd
	v_add_co_ci_u32_e32 v26, vcc_lo, s3, v26, vcc_lo
	global_load_b128 v[25:28], v[25:26], off
.LBB0_19:
	s_wait_alu 0xfffe
	s_or_b32 exec_lo, exec_lo, s5
	v_dual_mov_b32 v29, v31 :: v_dual_mov_b32 v30, v32
	s_and_saveexec_b32 s5, s1
	s_cbranch_execz .LBB0_21
; %bb.20:
	v_dual_mov_b32 v30, 0 :: v_dual_add_nc_u32 v29, 0x7e, v77
	s_delay_alu instid0(VALU_DEP_1) | instskip(NEXT) | instid1(VALU_DEP_1)
	v_mul_lo_u32 v29, s0, v29
	v_add3_u32 v29, s4, v49, v29
	s_delay_alu instid0(VALU_DEP_1) | instskip(NEXT) | instid1(VALU_DEP_1)
	v_lshlrev_b64_e32 v[29:30], 4, v[29:30]
	v_add_co_u32 v29, vcc_lo, s2, v29
	s_wait_alu 0xfffd
	s_delay_alu instid0(VALU_DEP_2)
	v_add_co_ci_u32_e32 v30, vcc_lo, s3, v30, vcc_lo
	global_load_b128 v[29:32], v[29:30], off
.LBB0_21:
	s_wait_alu 0xfffe
	s_or_b32 exec_lo, exec_lo, s5
	v_dual_mov_b32 v39, 0 :: v_dual_add_nc_u32 v82, 56, v77
	v_mov_b32_e32 v40, 0
	s_delay_alu instid0(VALU_DEP_2) | instskip(NEXT) | instid1(VALU_DEP_2)
	v_mov_b32_e32 v35, v39
	v_dual_mov_b32 v33, v39 :: v_dual_mov_b32 v34, v40
	v_mov_b32_e32 v36, v40
	s_and_saveexec_b32 s5, s1
	s_cbranch_execz .LBB0_23
; %bb.22:
	v_mul_lo_u32 v33, s0, v82
	v_mov_b32_e32 v34, 0
	s_delay_alu instid0(VALU_DEP_2) | instskip(NEXT) | instid1(VALU_DEP_1)
	v_add3_u32 v33, s4, v49, v33
	v_lshlrev_b64_e32 v[33:34], 4, v[33:34]
	s_delay_alu instid0(VALU_DEP_1) | instskip(SKIP_1) | instid1(VALU_DEP_2)
	v_add_co_u32 v33, vcc_lo, s2, v33
	s_wait_alu 0xfffd
	v_add_co_ci_u32_e32 v34, vcc_lo, s3, v34, vcc_lo
	global_load_b128 v[33:36], v[33:34], off
.LBB0_23:
	s_wait_alu 0xfffe
	s_or_b32 exec_lo, exec_lo, s5
	v_dual_mov_b32 v37, v39 :: v_dual_mov_b32 v38, v40
	s_and_saveexec_b32 s5, s1
	s_cbranch_execz .LBB0_25
; %bb.24:
	v_dual_mov_b32 v38, 0 :: v_dual_add_nc_u32 v37, 0x8c, v77
	s_delay_alu instid0(VALU_DEP_1) | instskip(NEXT) | instid1(VALU_DEP_1)
	v_mul_lo_u32 v37, s0, v37
	v_add3_u32 v37, s4, v49, v37
	s_delay_alu instid0(VALU_DEP_1) | instskip(NEXT) | instid1(VALU_DEP_1)
	v_lshlrev_b64_e32 v[37:38], 4, v[37:38]
	v_add_co_u32 v37, vcc_lo, s2, v37
	s_wait_alu 0xfffd
	s_delay_alu instid0(VALU_DEP_2)
	v_add_co_ci_u32_e32 v38, vcc_lo, s3, v38, vcc_lo
	global_load_b128 v[37:40], v[37:38], off
.LBB0_25:
	s_wait_alu 0xfffe
	s_or_b32 exec_lo, exec_lo, s5
	v_mov_b32_e32 v47, 0
	v_dual_mov_b32 v48, 0 :: v_dual_add_nc_u32 v83, 0x46, v77
	s_delay_alu instid0(VALU_DEP_2) | instskip(NEXT) | instid1(VALU_DEP_2)
	v_mov_b32_e32 v43, v47
	v_dual_mov_b32 v41, v47 :: v_dual_mov_b32 v42, v48
	v_mov_b32_e32 v44, v48
	s_and_saveexec_b32 s5, s1
	s_cbranch_execz .LBB0_27
; %bb.26:
	v_mul_lo_u32 v41, s0, v83
	v_mov_b32_e32 v42, 0
	s_delay_alu instid0(VALU_DEP_2) | instskip(NEXT) | instid1(VALU_DEP_1)
	v_add3_u32 v41, s4, v49, v41
	v_lshlrev_b64_e32 v[41:42], 4, v[41:42]
	s_delay_alu instid0(VALU_DEP_1) | instskip(SKIP_1) | instid1(VALU_DEP_2)
	v_add_co_u32 v41, vcc_lo, s2, v41
	s_wait_alu 0xfffd
	v_add_co_ci_u32_e32 v42, vcc_lo, s3, v42, vcc_lo
	global_load_b128 v[41:44], v[41:42], off
.LBB0_27:
	s_wait_alu 0xfffe
	s_or_b32 exec_lo, exec_lo, s5
	v_dual_mov_b32 v45, v47 :: v_dual_mov_b32 v46, v48
	s_and_saveexec_b32 s5, s1
	s_cbranch_execz .LBB0_29
; %bb.28:
	v_dual_mov_b32 v46, 0 :: v_dual_add_nc_u32 v45, 0x9a, v77
	s_delay_alu instid0(VALU_DEP_1) | instskip(NEXT) | instid1(VALU_DEP_1)
	v_mul_lo_u32 v45, s0, v45
	v_add3_u32 v45, s4, v49, v45
	s_delay_alu instid0(VALU_DEP_1) | instskip(NEXT) | instid1(VALU_DEP_1)
	v_lshlrev_b64_e32 v[45:46], 4, v[45:46]
	v_add_co_u32 v45, vcc_lo, s2, v45
	s_wait_alu 0xfffd
	s_delay_alu instid0(VALU_DEP_2)
	v_add_co_ci_u32_e32 v46, vcc_lo, s3, v46, vcc_lo
	global_load_b128 v[45:48], v[45:46], off
.LBB0_29:
	s_wait_alu 0xfffe
	s_or_b32 exec_lo, exec_lo, s5
	s_wait_loadcnt 0x0
	v_add_f64_e64 v[51:52], v[1:2], -v[5:6]
	v_add_f64_e64 v[13:14], v[9:10], -v[13:14]
	;; [unrolled: 1-line block ×6, first 2 shown]
	v_lshlrev_b32_e32 v88, 3, v59
	v_cmp_gt_u32_e32 vcc_lo, 0x78, v0
	v_fma_f64 v[37:38], v[1:2], 2.0, -v[51:52]
	v_fma_f64 v[45:46], v[9:10], 2.0, -v[13:14]
	;; [unrolled: 1-line block ×6, first 2 shown]
	v_mad_u32_u24 v2, 0xc0, v77, 0
	s_delay_alu instid0(VALU_DEP_1) | instskip(SKIP_1) | instid1(VALU_DEP_2)
	v_mad_i32_i24 v33, 0xffffffa0, v77, v2
	v_add_nc_u32_e32 v1, v2, v88
	v_add_nc_u32_e32 v84, v33, v88
	s_delay_alu instid0(VALU_DEP_2)
	v_add_nc_u32_e32 v2, 0x800, v1
	v_add_nc_u32_e32 v34, 0x1000, v1
	;; [unrolled: 1-line block ×9, first 2 shown]
	v_lshl_add_u32 v67, v59, 3, v33
	ds_store_2addr_b64 v1, v[37:38], v[51:52] offset1:12
	ds_store_2addr_b64 v2, v[45:46], v[13:14] offset0:80 offset1:92
	ds_store_2addr_b64 v34, v[55:56], v[53:54] offset0:160 offset1:172
	;; [unrolled: 1-line block ×5, first 2 shown]
	global_wb scope:SCOPE_SE
	s_wait_dscnt 0x0
	s_barrier_signal -1
	s_barrier_wait -1
	global_inv scope:SCOPE_SE
	ds_load_b64 v[37:38], v84
	ds_load_b64 v[41:42], v84 offset:2304
	ds_load_b64 v[45:46], v84 offset:4608
	;; [unrolled: 1-line block ×6, first 2 shown]
	v_add_nc_u32_e32 v2, 0xa80, v1
                                        ; implicit-def: $vgpr25_vgpr26
                                        ; implicit-def: $vgpr33_vgpr34
	s_and_saveexec_b32 s5, vcc_lo
	s_cbranch_execz .LBB0_31
; %bb.30:
	ds_load_b64 v[17:18], v84 offset:3648
	ds_load_b64 v[29:30], v84 offset:5952
	ds_load_b64 v[9:10], v84 offset:8256
	ds_load_b64 v[21:22], v84 offset:10560
	ds_load_b64 v[33:34], v84 offset:12864
	ds_load_b64 v[5:6], v67 offset:1344
	ds_load_b64 v[25:26], v84 offset:15168
.LBB0_31:
	s_wait_alu 0xfffe
	s_or_b32 exec_lo, exec_lo, s5
	v_add_f64_e64 v[64:65], v[3:4], -v[7:8]
	v_add_f64_e64 v[68:69], v[11:12], -v[15:16]
	;; [unrolled: 1-line block ×6, first 2 shown]
	global_wb scope:SCOPE_SE
	s_wait_dscnt 0x0
	s_barrier_signal -1
	s_barrier_wait -1
	global_inv scope:SCOPE_SE
	v_fma_f64 v[31:32], v[3:4], 2.0, -v[64:65]
	v_fma_f64 v[39:40], v[11:12], 2.0, -v[68:69]
	v_fma_f64 v[19:20], v[19:20], 2.0, -v[23:24]
	v_fma_f64 v[27:28], v[27:28], 2.0, -v[13:14]
	v_fma_f64 v[11:12], v[35:36], 2.0, -v[15:16]
	v_fma_f64 v[3:4], v[43:44], 2.0, -v[7:8]
	ds_store_2addr_b64 v1, v[31:32], v[64:65] offset1:12
	ds_store_2addr_b64 v2, v[39:40], v[68:69] offset1:12
	;; [unrolled: 1-line block ×6, first 2 shown]
	global_wb scope:SCOPE_SE
	s_wait_dscnt 0x0
	s_barrier_signal -1
	s_barrier_wait -1
	global_inv scope:SCOPE_SE
	ds_load_b64 v[1:2], v84
	ds_load_b64 v[59:60], v84 offset:2304
	ds_load_b64 v[43:44], v84 offset:4608
	;; [unrolled: 1-line block ×6, first 2 shown]
                                        ; implicit-def: $vgpr19_vgpr20
                                        ; implicit-def: $vgpr23_vgpr24
	s_and_saveexec_b32 s5, vcc_lo
	s_cbranch_execz .LBB0_33
; %bb.32:
	ds_load_b64 v[11:12], v84 offset:3648
	ds_load_b64 v[15:16], v84 offset:5952
	ds_load_b64 v[3:4], v84 offset:8256
	ds_load_b64 v[7:8], v84 offset:10560
	ds_load_b64 v[23:24], v84 offset:12864
	ds_load_b64 v[13:14], v67 offset:1344
	ds_load_b64 v[19:20], v84 offset:15168
.LBB0_33:
	s_wait_alu 0xfffe
	s_or_b32 exec_lo, exec_lo, s5
	v_and_b32_e32 v89, 1, v77
	s_mov_b32 s10, 0xe976ee23
	s_mov_b32 s14, 0x37e14327
	;; [unrolled: 1-line block ×4, first 2 shown]
	v_mul_u32_u24_e32 v27, 6, v89
	s_mov_b32 s15, 0x3fe948f6
	s_mov_b32 s12, 0x36b3c0b5
	;; [unrolled: 1-line block ×4, first 2 shown]
	v_lshlrev_b32_e32 v27, 4, v27
	s_mov_b32 s16, 0xb247c609
	s_mov_b32 s22, 0xaaaaaaaa
	;; [unrolled: 1-line block ×4, first 2 shown]
	s_clause 0x5
	global_load_b128 v[67:70], v27, s[8:9]
	global_load_b128 v[71:74], v27, s[8:9] offset:16
	global_load_b128 v[90:93], v27, s[8:9] offset:80
	;; [unrolled: 1-line block ×5, first 2 shown]
	s_mov_b32 s20, 0x5476071b
	s_mov_b32 s19, 0x3fd5d0dc
	;; [unrolled: 1-line block ×4, first 2 shown]
	s_wait_alu 0xfffe
	s_mov_b32 s18, s16
	s_mov_b32 s24, s20
	;; [unrolled: 1-line block ×4, first 2 shown]
	global_wb scope:SCOPE_SE
	s_wait_loadcnt_dscnt 0x0
	s_barrier_signal -1
	s_barrier_wait -1
	global_inv scope:SCOPE_SE
	v_mul_f64_e32 v[27:28], v[59:60], v[69:70]
	v_mul_f64_e32 v[31:32], v[43:44], v[73:74]
	;; [unrolled: 1-line block ×14, first 2 shown]
	v_fma_f64 v[27:28], v[41:42], v[67:68], v[27:28]
	v_fma_f64 v[35:36], v[45:46], v[71:72], v[31:32]
	;; [unrolled: 1-line block ×4, first 2 shown]
	v_fma_f64 v[43:44], v[43:44], v[71:72], -v[85:86]
	v_fma_f64 v[55:56], v[59:60], v[67:68], -v[106:107]
	;; [unrolled: 1-line block ×6, first 2 shown]
	v_fma_f64 v[51:52], v[51:52], v[98:99], v[116:117]
	v_fma_f64 v[53:54], v[53:54], v[102:103], v[118:119]
	v_mul_f64_e32 v[118:119], v[23:24], v[96:97]
	v_mul_f64_e32 v[96:97], v[33:34], v[96:97]
	v_add_f64_e32 v[59:60], v[27:28], v[31:32]
	v_add_f64_e32 v[61:62], v[35:36], v[39:40]
	v_add_f64_e64 v[63:64], v[43:44], -v[45:46]
	v_add_f64_e64 v[65:66], v[47:48], -v[41:42]
	v_add_f64_e64 v[75:76], v[55:56], -v[57:58]
	v_add_f64_e32 v[85:86], v[51:52], v[53:54]
	v_fma_f64 v[33:34], v[33:34], v[94:95], v[118:119]
	v_add_f64_e32 v[106:107], v[61:62], v[59:60]
	v_add_f64_e64 v[108:109], v[65:66], -v[63:64]
	v_add_f64_e64 v[110:111], v[63:64], -v[75:76]
	v_add_f64_e32 v[63:64], v[65:66], v[63:64]
	v_add_f64_e64 v[112:113], v[59:60], -v[85:86]
	v_add_f64_e64 v[65:66], v[75:76], -v[65:66]
	v_add_f64_e32 v[106:107], v[85:86], v[106:107]
	v_add_f64_e64 v[85:86], v[85:86], -v[61:62]
	v_mul_f64_e32 v[108:109], s[10:11], v[108:109]
	v_mul_f64_e32 v[114:115], s[6:7], v[110:111]
	;; [unrolled: 1-line block ×3, first 2 shown]
	v_add_f64_e32 v[116:117], v[37:38], v[106:107]
	v_add_f64_e64 v[37:38], v[61:62], -v[59:60]
	v_mul_f64_e32 v[59:60], s[12:13], v[85:86]
	v_add_f64_e32 v[61:62], v[63:64], v[75:76]
	v_fma_f64 v[75:76], v[65:66], s[16:17], v[108:109]
	v_fma_f64 v[63:64], v[110:111], s[6:7], -v[108:109]
	v_fma_f64 v[65:66], v[65:66], s[18:19], -v[114:115]
	v_fma_f64 v[85:86], v[85:86], s[12:13], v[112:113]
	v_mul_f64_e32 v[110:111], v[15:16], v[73:74]
	v_mul_f64_e32 v[73:74], v[29:30], v[73:74]
	;; [unrolled: 1-line block ×4, first 2 shown]
	v_fma_f64 v[106:107], v[106:107], s[22:23], v[116:117]
	v_fma_f64 v[108:109], v[37:38], s[24:25], -v[112:113]
	v_fma_f64 v[37:38], v[37:38], s[20:21], -v[59:60]
	v_mul_f64_e32 v[59:60], v[11:12], v[69:70]
	v_mul_f64_e32 v[69:70], v[17:18], v[69:70]
	;; [unrolled: 1-line block ×4, first 2 shown]
	v_fma_f64 v[75:76], v[61:62], s[26:27], v[75:76]
	v_fma_f64 v[122:123], v[61:62], s[26:27], v[63:64]
	;; [unrolled: 1-line block ×4, first 2 shown]
	v_fma_f64 v[65:66], v[15:16], v[71:72], -v[73:74]
	v_fma_f64 v[61:62], v[21:22], v[102:103], v[114:115]
	v_fma_f64 v[73:74], v[23:24], v[94:95], -v[96:97]
	v_fma_f64 v[71:72], v[25:26], v[90:91], v[120:121]
	v_add_f64_e32 v[85:86], v[85:86], v[106:107]
	v_add_f64_e32 v[108:109], v[108:109], v[106:107]
	;; [unrolled: 1-line block ×3, first 2 shown]
	v_fma_f64 v[37:38], v[17:18], v[67:68], v[59:60]
	v_fma_f64 v[63:64], v[11:12], v[67:68], -v[69:70]
	v_fma_f64 v[59:60], v[9:10], v[98:99], v[112:113]
	v_fma_f64 v[67:68], v[3:4], v[98:99], -v[100:101]
	v_fma_f64 v[69:70], v[7:8], v[102:103], -v[104:105]
	v_add_f64_e32 v[3:4], v[75:76], v[85:86]
	v_add_f64_e64 v[17:18], v[85:86], -v[75:76]
	v_fma_f64 v[75:76], v[19:20], v[90:91], -v[92:93]
	v_add_f64_e32 v[7:8], v[124:125], v[108:109]
	v_add_f64_e64 v[9:10], v[106:107], -v[122:123]
	v_add_f64_e32 v[11:12], v[122:123], v[106:107]
	v_add_f64_e64 v[15:16], v[108:109], -v[124:125]
	v_lshrrev_b32_e32 v19, 1, v77
	v_lshrrev_b32_e32 v90, 1, v79
	s_delay_alu instid0(VALU_DEP_2) | instskip(NEXT) | instid1(VALU_DEP_1)
	v_mul_u32_u24_e32 v19, 14, v19
	v_or_b32_e32 v19, v19, v89
	s_delay_alu instid0(VALU_DEP_1) | instskip(NEXT) | instid1(VALU_DEP_1)
	v_mul_u32_u24_e32 v19, 0x60, v19
	v_add3_u32 v91, 0, v19, v88
	ds_store_2addr_b64 v91, v[116:117], v[3:4] offset1:24
	ds_store_2addr_b64 v91, v[7:8], v[9:10] offset0:48 offset1:72
	ds_store_2addr_b64 v91, v[11:12], v[15:16] offset0:96 offset1:120
	ds_store_b64 v91, v[17:18] offset:1152
	s_and_saveexec_b32 s5, vcc_lo
	s_cbranch_execz .LBB0_35
; %bb.34:
	v_add_f64_e32 v[3:4], v[29:30], v[33:34]
	v_add_f64_e32 v[7:8], v[37:38], v[71:72]
	v_add_f64_e64 v[9:10], v[69:70], -v[67:68]
	v_add_f64_e64 v[11:12], v[65:66], -v[73:74]
	v_add_f64_e32 v[15:16], v[59:60], v[61:62]
	v_add_f64_e64 v[17:18], v[63:64], -v[75:76]
	v_add_f64_e32 v[19:20], v[3:4], v[7:8]
	s_delay_alu instid0(VALU_DEP_4) | instskip(NEXT) | instid1(VALU_DEP_4)
	v_add_f64_e64 v[21:22], v[9:10], -v[11:12]
	v_add_f64_e64 v[23:24], v[7:8], -v[15:16]
	s_delay_alu instid0(VALU_DEP_4)
	v_add_f64_e64 v[25:26], v[11:12], -v[17:18]
	v_add_f64_e32 v[11:12], v[9:10], v[11:12]
	v_add_f64_e64 v[9:10], v[17:18], -v[9:10]
	v_add_f64_e32 v[19:20], v[15:16], v[19:20]
	v_add_f64_e64 v[15:16], v[15:16], -v[3:4]
	v_add_f64_e64 v[3:4], v[3:4], -v[7:8]
	v_mul_f64_e32 v[7:8], s[10:11], v[21:22]
	v_mul_f64_e32 v[21:22], s[14:15], v[23:24]
	v_mul_f64_e32 v[23:24], s[6:7], v[25:26]
	v_add_f64_e32 v[11:12], v[11:12], v[17:18]
	v_add_f64_e32 v[5:6], v[5:6], v[19:20]
	v_mul_f64_e32 v[85:86], s[12:13], v[15:16]
	v_fma_f64 v[17:18], v[9:10], s[16:17], v[7:8]
	v_fma_f64 v[15:16], v[15:16], s[12:13], v[21:22]
	v_fma_f64 v[92:93], v[3:4], s[24:25], -v[21:22]
	v_fma_f64 v[9:10], v[9:10], s[18:19], -v[23:24]
	;; [unrolled: 1-line block ×3, first 2 shown]
	v_fma_f64 v[19:20], v[19:20], s[22:23], v[5:6]
	v_fma_f64 v[3:4], v[3:4], s[20:21], -v[85:86]
	v_fma_f64 v[17:18], v[11:12], s[26:27], v[17:18]
	v_fma_f64 v[9:10], v[11:12], s[26:27], v[9:10]
	;; [unrolled: 1-line block ×3, first 2 shown]
	v_add_f64_e32 v[15:16], v[15:16], v[19:20]
	v_add_f64_e32 v[11:12], v[92:93], v[19:20]
	;; [unrolled: 1-line block ×3, first 2 shown]
	s_delay_alu instid0(VALU_DEP_3) | instskip(NEXT) | instid1(VALU_DEP_3)
	v_add_f64_e32 v[23:24], v[17:18], v[15:16]
	v_add_f64_e64 v[19:20], v[11:12], -v[9:10]
	s_delay_alu instid0(VALU_DEP_3) | instskip(SKIP_4) | instid1(VALU_DEP_1)
	v_add_f64_e64 v[21:22], v[3:4], -v[7:8]
	v_add_f64_e32 v[9:10], v[9:10], v[11:12]
	v_add_f64_e32 v[3:4], v[7:8], v[3:4]
	v_add_f64_e64 v[7:8], v[15:16], -v[17:18]
	v_mul_u32_u24_e32 v11, 14, v90
	v_or_b32_e32 v11, v11, v89
	s_delay_alu instid0(VALU_DEP_1) | instskip(NEXT) | instid1(VALU_DEP_1)
	v_mul_u32_u24_e32 v11, 0x60, v11
	v_add3_u32 v11, 0, v11, v88
	ds_store_2addr_b64 v11, v[5:6], v[23:24] offset1:24
	ds_store_2addr_b64 v11, v[9:10], v[21:22] offset0:48 offset1:72
	ds_store_2addr_b64 v11, v[3:4], v[19:20] offset0:96 offset1:120
	ds_store_b64 v11, v[7:8] offset:1152
.LBB0_35:
	s_wait_alu 0xfffe
	s_or_b32 exec_lo, exec_lo, s5
	v_add_f64_e32 v[3:4], v[55:56], v[57:58]
	v_add_f64_e32 v[5:6], v[43:44], v[45:46]
	v_add_f64_e64 v[7:8], v[35:36], -v[39:40]
	v_add_f64_e32 v[9:10], v[41:42], v[47:48]
	v_add_f64_e64 v[11:12], v[53:54], -v[51:52]
	v_add_f64_e64 v[15:16], v[27:28], -v[31:32]
	v_add_nc_u32_e32 v31, 0x2e00, v84
	v_add_nc_u32_e32 v28, 0x1800, v84
	;; [unrolled: 1-line block ×3, first 2 shown]
	global_wb scope:SCOPE_SE
	s_wait_dscnt 0x0
	s_barrier_signal -1
	s_barrier_wait -1
	global_inv scope:SCOPE_SE
	v_add_f64_e32 v[17:18], v[5:6], v[3:4]
	v_add_f64_e64 v[19:20], v[3:4], -v[9:10]
	v_add_f64_e64 v[21:22], v[11:12], -v[7:8]
	;; [unrolled: 1-line block ×3, first 2 shown]
	v_add_f64_e32 v[7:8], v[11:12], v[7:8]
	v_add_f64_e64 v[11:12], v[15:16], -v[11:12]
	v_add_f64_e32 v[17:18], v[9:10], v[17:18]
	v_add_f64_e64 v[9:10], v[9:10], -v[5:6]
	v_mul_f64_e32 v[19:20], s[14:15], v[19:20]
	v_mul_f64_e32 v[21:22], s[10:11], v[21:22]
	;; [unrolled: 1-line block ×3, first 2 shown]
	v_add_f64_e32 v[35:36], v[1:2], v[17:18]
	v_add_f64_e64 v[1:2], v[5:6], -v[3:4]
	v_mul_f64_e32 v[3:4], s[12:13], v[9:10]
	v_add_f64_e32 v[5:6], v[7:8], v[15:16]
	v_fma_f64 v[7:8], v[9:10], s[12:13], v[19:20]
	v_fma_f64 v[9:10], v[11:12], s[16:17], v[21:22]
	v_fma_f64 v[15:16], v[23:24], s[6:7], -v[21:22]
	v_fma_f64 v[11:12], v[11:12], s[18:19], -v[25:26]
	v_fma_f64 v[17:18], v[17:18], s[22:23], v[35:36]
	v_fma_f64 v[19:20], v[1:2], s[24:25], -v[19:20]
	v_fma_f64 v[1:2], v[1:2], s[20:21], -v[3:4]
	v_fma_f64 v[3:4], v[5:6], s[26:27], v[9:10]
	v_fma_f64 v[9:10], v[5:6], s[26:27], v[15:16]
	;; [unrolled: 1-line block ×3, first 2 shown]
	v_add_f64_e32 v[7:8], v[7:8], v[17:18]
	v_add_f64_e32 v[11:12], v[19:20], v[17:18]
	;; [unrolled: 1-line block ×3, first 2 shown]
	s_delay_alu instid0(VALU_DEP_3) | instskip(NEXT) | instid1(VALU_DEP_3)
	v_add_f64_e64 v[39:40], v[7:8], -v[3:4]
	v_add_f64_e64 v[41:42], v[11:12], -v[5:6]
	s_delay_alu instid0(VALU_DEP_3) | instskip(SKIP_4) | instid1(VALU_DEP_1)
	v_add_f64_e32 v[43:44], v[9:10], v[1:2]
	v_add_f64_e64 v[45:46], v[1:2], -v[9:10]
	v_add_f64_e32 v[47:48], v[5:6], v[11:12]
	v_add_f64_e32 v[51:52], v[3:4], v[7:8]
	v_mul_u32_u24_e32 v1, 0x60, v80
	v_add3_u32 v85, 0, v1, v88
	ds_load_b64 v[15:16], v84
	ds_load_b64 v[19:20], v84 offset:4032
	ds_load_2addr_b64 v[1:4], v28 offset0:72 offset1:240
	ds_load_2addr_b64 v[5:8], v27 offset0:24 offset1:192
	v_add_nc_u32_e32 v87, 0xfffffac0, v85
	ds_load_2addr_b64 v[9:12], v31 offset0:40 offset1:208
	ds_load_b64 v[21:22], v85
	ds_load_b64 v[25:26], v84 offset:14784
	ds_load_b64 v[23:24], v85 offset:2688
	ds_load_b64 v[17:18], v87
	v_add_nc_u32_e32 v86, 0xa80, v85
	global_wb scope:SCOPE_SE
	s_wait_dscnt 0x0
	s_barrier_signal -1
	s_barrier_wait -1
	global_inv scope:SCOPE_SE
	ds_store_2addr_b64 v91, v[35:36], v[39:40] offset1:24
	ds_store_2addr_b64 v91, v[41:42], v[43:44] offset0:48 offset1:72
	ds_store_2addr_b64 v91, v[45:46], v[47:48] offset0:96 offset1:120
	ds_store_b64 v91, v[51:52] offset:1152
	s_and_saveexec_b32 s5, vcc_lo
	s_cbranch_execz .LBB0_37
; %bb.36:
	v_add_f64_e32 v[35:36], v[63:64], v[75:76]
	v_add_f64_e32 v[39:40], v[65:66], v[73:74]
	;; [unrolled: 1-line block ×3, first 2 shown]
	v_add_f64_e64 v[29:30], v[29:30], -v[33:34]
	v_add_f64_e64 v[32:33], v[61:62], -v[59:60]
	;; [unrolled: 1-line block ×3, first 2 shown]
	s_mov_b32 s6, 0x37e14327
	s_mov_b32 s7, 0x3fe948f6
	;; [unrolled: 1-line block ×10, first 2 shown]
	v_add_f64_e32 v[43:44], v[39:40], v[35:36]
	v_add_f64_e64 v[45:46], v[35:36], -v[41:42]
	v_add_f64_e64 v[47:48], v[41:42], -v[39:40]
	;; [unrolled: 1-line block ×5, first 2 shown]
	v_add_f64_e32 v[29:30], v[32:33], v[29:30]
	v_add_f64_e64 v[32:33], v[37:38], -v[32:33]
	v_add_f64_e32 v[41:42], v[41:42], v[43:44]
	s_wait_alu 0xfffe
	v_mul_f64_e32 v[39:40], s[6:7], v[45:46]
	s_mov_b32 s6, 0x429ad128
	v_mul_f64_e32 v[45:46], s[12:13], v[51:52]
	s_mov_b32 s7, 0xbfebfeb5
	v_mul_f64_e32 v[43:44], s[10:11], v[47:48]
	s_wait_alu 0xfffe
	v_mul_f64_e32 v[51:52], s[6:7], v[53:54]
	s_mov_b32 s12, 0xaaaaaaaa
	s_mov_b32 s13, 0xbff2aaaa
	v_add_f64_e32 v[29:30], v[29:30], v[37:38]
	v_add_f64_e32 v[13:14], v[13:14], v[41:42]
	v_fma_f64 v[36:37], v[47:48], s[10:11], v[39:40]
	v_fma_f64 v[47:48], v[32:33], s[16:17], v[45:46]
	s_mov_b32 s17, 0x3fd5d0dc
	v_fma_f64 v[43:44], v[34:35], s[14:15], -v[43:44]
	s_mov_b32 s15, 0xbfe77f67
	v_fma_f64 v[45:46], v[53:54], s[6:7], -v[45:46]
	s_wait_alu 0xfffe
	v_fma_f64 v[32:33], v[32:33], s[16:17], -v[51:52]
	v_fma_f64 v[34:35], v[34:35], s[14:15], -v[39:40]
	s_mov_b32 s6, 0x37c3f68c
	s_mov_b32 s7, 0xbfdc38aa
	v_fma_f64 v[41:42], v[41:42], s[12:13], v[13:14]
	s_wait_alu 0xfffe
	v_fma_f64 v[38:39], v[29:30], s[6:7], v[47:48]
	v_fma_f64 v[45:46], v[29:30], s[6:7], v[45:46]
	;; [unrolled: 1-line block ×3, first 2 shown]
	s_delay_alu instid0(VALU_DEP_4) | instskip(SKIP_2) | instid1(VALU_DEP_3)
	v_add_f64_e32 v[32:33], v[36:37], v[41:42]
	v_add_f64_e32 v[34:35], v[34:35], v[41:42]
	;; [unrolled: 1-line block ×3, first 2 shown]
	v_add_f64_e64 v[40:41], v[32:33], -v[38:39]
	s_delay_alu instid0(VALU_DEP_3) | instskip(NEXT) | instid1(VALU_DEP_3)
	v_add_f64_e64 v[42:43], v[34:35], -v[29:30]
	v_add_f64_e32 v[47:48], v[45:46], v[36:37]
	v_add_f64_e64 v[36:37], v[36:37], -v[45:46]
	v_add_f64_e32 v[29:30], v[29:30], v[34:35]
	v_add_f64_e32 v[32:33], v[38:39], v[32:33]
	v_mul_u32_u24_e32 v34, 14, v90
	s_delay_alu instid0(VALU_DEP_1) | instskip(NEXT) | instid1(VALU_DEP_1)
	v_or_b32_e32 v34, v34, v89
	v_mul_u32_u24_e32 v34, 0x60, v34
	s_delay_alu instid0(VALU_DEP_1)
	v_add3_u32 v34, 0, v34, v88
	ds_store_2addr_b64 v34, v[13:14], v[40:41] offset1:24
	ds_store_2addr_b64 v34, v[42:43], v[47:48] offset0:48 offset1:72
	ds_store_2addr_b64 v34, v[36:37], v[29:30] offset0:96 offset1:120
	ds_store_b64 v34, v[32:33] offset:1152
.LBB0_37:
	s_wait_alu 0xfffe
	s_or_b32 exec_lo, exec_lo, s5
	v_mul_hi_u32 v117, 0x12492493, v79
	v_mul_hi_u32 v13, 0x12492493, v77
	global_wb scope:SCOPE_SE
	s_wait_dscnt 0x0
	s_barrier_signal -1
	s_barrier_wait -1
	global_inv scope:SCOPE_SE
	s_mov_b32 s6, 0xe8584caa
	s_mov_b32 s7, 0xbfebb67a
	v_mul_u32_u24_e32 v14, 14, v117
	v_mul_u32_u24_e32 v13, 14, v13
	s_mov_b32 s11, 0x3febb67a
	s_wait_alu 0xfffe
	s_mov_b32 s10, s6
	v_mul_hi_u32 v0, 0x1861862, v0
	v_sub_nc_u32_e32 v118, v79, v14
	v_sub_nc_u32_e32 v119, v77, v13
	s_delay_alu instid0(VALU_DEP_2) | instskip(NEXT) | instid1(VALU_DEP_2)
	v_mul_i32_i24_e32 v45, 5, v118
	v_mul_u32_u24_e32 v29, 5, v119
	s_delay_alu instid0(VALU_DEP_1) | instskip(NEXT) | instid1(VALU_DEP_1)
	v_dual_mov_b32 v46, 0 :: v_dual_lshlrev_b32 v29, 4, v29
	v_lshlrev_b64_e32 v[13:14], 4, v[45:46]
	s_delay_alu instid0(VALU_DEP_1) | instskip(SKIP_1) | instid1(VALU_DEP_2)
	v_add_co_u32 v13, vcc_lo, s8, v13
	s_wait_alu 0xfffd
	v_add_co_ci_u32_e32 v14, vcc_lo, s9, v14, vcc_lo
	s_clause 0x9
	global_load_b128 v[32:35], v29, s[8:9] offset:224
	global_load_b128 v[36:39], v29, s[8:9] offset:256
	global_load_b128 v[40:43], v[13:14], off offset:224
	global_load_b128 v[51:54], v[13:14], off offset:256
	global_load_b128 v[55:58], v29, s[8:9] offset:192
	global_load_b128 v[59:62], v[13:14], off offset:192
	global_load_b128 v[63:66], v29, s[8:9] offset:208
	global_load_b128 v[67:70], v29, s[8:9] offset:240
	global_load_b128 v[71:74], v[13:14], off offset:208
	global_load_b128 v[89:92], v[13:14], off offset:240
	ds_load_2addr_b64 v[93:96], v28 offset0:72 offset1:240
	ds_load_2addr_b64 v[28:31], v31 offset0:40 offset1:208
	ds_load_b64 v[101:102], v84 offset:14784
	ds_load_2addr_b64 v[97:100], v27 offset0:24 offset1:192
	ds_load_b64 v[103:104], v85
	ds_load_b64 v[105:106], v84 offset:4032
	s_wait_loadcnt 0x9
	v_mul_f64_e32 v[13:14], v[3:4], v[34:35]
	s_wait_loadcnt 0x8
	v_mul_f64_e32 v[44:45], v[11:12], v[38:39]
	;; [unrolled: 2-line block ×4, first 2 shown]
	s_wait_dscnt 0x5
	v_mul_f64_e32 v[34:35], v[95:96], v[34:35]
	s_wait_dscnt 0x4
	v_mul_f64_e32 v[38:39], v[30:31], v[38:39]
	s_wait_loadcnt 0x5
	v_mul_f64_e32 v[107:108], v[21:22], v[57:58]
	s_wait_dscnt 0x3
	v_mul_f64_e32 v[53:54], v[101:102], v[53:54]
	s_wait_dscnt 0x2
	;; [unrolled: 2-line block ×3, first 2 shown]
	v_mul_f64_e32 v[57:58], v[103:104], v[57:58]
	s_wait_loadcnt 0x2
	v_mul_f64_e32 v[111:112], v[99:100], v[69:70]
	s_wait_loadcnt 0x1
	;; [unrolled: 2-line block ×3, first 2 shown]
	v_mul_f64_e32 v[115:116], v[28:29], v[91:92]
	v_fma_f64 v[13:14], v[95:96], v[32:33], -v[13:14]
	v_fma_f64 v[30:31], v[30:31], v[36:37], -v[44:45]
	v_mul_f64_e32 v[44:45], v[19:20], v[61:62]
	v_fma_f64 v[47:48], v[97:98], v[40:41], -v[47:48]
	v_fma_f64 v[75:76], v[101:102], v[51:52], -v[75:76]
	ds_load_b64 v[95:96], v86
	ds_load_b64 v[97:98], v87
	;; [unrolled: 1-line block ×3, first 2 shown]
	v_fma_f64 v[3:4], v[3:4], v[32:33], v[34:35]
	v_fma_f64 v[11:12], v[11:12], v[36:37], v[38:39]
	v_fma_f64 v[32:33], v[103:104], v[55:56], -v[107:108]
	s_wait_dscnt 0x3
	v_mul_f64_e32 v[61:62], v[105:106], v[61:62]
	v_fma_f64 v[25:26], v[25:26], v[51:52], v[53:54]
	v_fma_f64 v[5:6], v[5:6], v[40:41], v[42:43]
	v_mul_f64_e32 v[40:41], v[23:24], v[65:66]
	v_mul_f64_e32 v[42:43], v[7:8], v[69:70]
	;; [unrolled: 1-line block ×3, first 2 shown]
	v_fma_f64 v[21:22], v[21:22], v[55:56], v[57:58]
	v_fma_f64 v[7:8], v[7:8], v[67:68], v[111:112]
	;; [unrolled: 1-line block ×3, first 2 shown]
	global_wb scope:SCOPE_SE
	s_wait_dscnt 0x0
	s_barrier_signal -1
	s_barrier_wait -1
	global_inv scope:SCOPE_SE
	v_mul_f64_e32 v[109:110], v[95:96], v[65:66]
	v_add_f64_e32 v[34:35], v[13:14], v[30:31]
	v_fma_f64 v[36:37], v[105:106], v[59:60], -v[44:45]
	v_mul_f64_e32 v[44:45], v[1:2], v[73:74]
	v_add_f64_e32 v[38:39], v[47:48], v[75:76]
	v_fma_f64 v[1:2], v[1:2], v[71:72], v[113:114]
	v_add_f64_e64 v[65:66], v[47:48], -v[75:76]
	v_add_f64_e32 v[53:54], v[3:4], v[11:12]
	v_add_f64_e64 v[55:56], v[3:4], -v[11:12]
	v_fma_f64 v[19:20], v[19:20], v[59:60], v[61:62]
	v_add_f64_e64 v[61:62], v[13:14], -v[30:31]
	v_add_f64_e32 v[57:58], v[5:6], v[25:26]
	v_add_f64_e64 v[59:60], v[5:6], -v[25:26]
	v_fma_f64 v[40:41], v[95:96], v[63:64], -v[40:41]
	v_fma_f64 v[42:43], v[99:100], v[67:68], -v[42:43]
	v_fma_f64 v[27:28], v[28:29], v[89:90], -v[51:52]
	v_add_f64_e32 v[3:4], v[21:22], v[3:4]
	v_add_f64_e32 v[13:14], v[32:33], v[13:14]
	v_fma_f64 v[23:24], v[23:24], v[63:64], v[109:110]
	v_fma_f64 v[34:35], v[34:35], -0.5, v[32:33]
	v_fma_f64 v[44:45], v[93:94], v[71:72], -v[44:45]
	v_fma_f64 v[38:39], v[38:39], -0.5, v[36:37]
	v_add_f64_e32 v[63:64], v[1:2], v[9:10]
	v_add_f64_e32 v[73:74], v[17:18], v[1:2]
	v_fma_f64 v[53:54], v[53:54], -0.5, v[21:22]
	v_add_f64_e32 v[36:37], v[36:37], v[47:48]
	v_add_f64_e32 v[5:6], v[19:20], v[5:6]
	v_add_f64_e64 v[1:2], v[1:2], -v[9:10]
	v_add_f64_e64 v[71:72], v[40:41], -v[42:43]
	v_add_f64_e32 v[3:4], v[3:4], v[11:12]
	v_add_f64_e32 v[13:14], v[13:14], v[30:31]
	;; [unrolled: 1-line block ×4, first 2 shown]
	v_add_f64_e64 v[23:24], v[23:24], -v[7:8]
	s_wait_alu 0xfffe
	v_fma_f64 v[67:68], v[55:56], s[10:11], v[34:35]
	v_fma_f64 v[34:35], v[55:56], s[6:7], v[34:35]
	v_fma_f64 v[55:56], v[57:58], -0.5, v[19:20]
	v_fma_f64 v[57:58], v[59:60], s[10:11], v[38:39]
	v_fma_f64 v[38:39], v[59:60], s[6:7], v[38:39]
	v_add_f64_e32 v[59:60], v[40:41], v[42:43]
	v_add_f64_e32 v[21:22], v[44:45], v[27:28]
	v_fma_f64 v[19:20], v[61:62], s[6:7], v[53:54]
	v_add_f64_e64 v[89:90], v[44:45], -v[27:28]
	v_fma_f64 v[17:18], v[63:64], -0.5, v[17:18]
	v_add_f64_e32 v[40:41], v[101:102], v[40:41]
	v_add_f64_e32 v[32:33], v[97:98], v[44:45]
	;; [unrolled: 1-line block ×5, first 2 shown]
	v_fma_f64 v[15:16], v[51:52], -0.5, v[15:16]
	v_fma_f64 v[51:52], v[61:62], s[10:11], v[53:54]
	v_add_f64_e32 v[7:8], v[69:70], v[7:8]
	v_add_nc_u32_e32 v70, 0x1e00, v84
	v_add_nc_u32_e32 v69, 0x2800, v84
	v_mul_f64_e32 v[53:54], s[6:7], v[67:68]
	v_mul_f64_e32 v[61:62], s[6:7], v[34:35]
	v_fma_f64 v[63:64], v[65:66], s[6:7], v[55:56]
	v_fma_f64 v[55:56], v[65:66], s[10:11], v[55:56]
	v_mul_f64_e32 v[65:66], s[6:7], v[57:58]
	v_mul_f64_e32 v[91:92], s[6:7], v[38:39]
	v_fma_f64 v[44:45], v[59:60], -0.5, v[101:102]
	v_mul_f64_e32 v[47:48], 0.5, v[67:68]
	v_mul_f64_e32 v[34:35], -0.5, v[34:35]
	v_fma_f64 v[21:22], v[21:22], -0.5, v[97:98]
	v_mul_f64_e32 v[11:12], 0.5, v[57:58]
	v_mul_f64_e32 v[38:39], -0.5, v[38:39]
	v_fma_f64 v[59:60], v[89:90], s[6:7], v[17:18]
	v_fma_f64 v[17:18], v[89:90], s[10:11], v[17:18]
	v_add_f64_e32 v[40:41], v[40:41], v[42:43]
	v_add_f64_e32 v[27:28], v[32:33], v[27:28]
	v_mad_u32_u24 v67, 0x54, v0, v119
	v_mad_u32_u24 v68, 0x54, v117, v118
	v_fma_f64 v[25:26], v[71:72], s[6:7], v[15:16]
	v_fma_f64 v[15:16], v[71:72], s[10:11], v[15:16]
	v_add_nc_u32_e32 v71, 0x3400, v84
	v_fma_f64 v[53:54], v[19:20], 0.5, v[53:54]
	v_fma_f64 v[57:58], v[51:52], -0.5, v[61:62]
	v_fma_f64 v[61:62], v[63:64], 0.5, v[65:66]
	v_fma_f64 v[65:66], v[55:56], -0.5, v[91:92]
	v_fma_f64 v[31:32], v[23:24], s[10:11], v[44:45]
	v_fma_f64 v[19:20], v[19:20], s[10:11], v[47:48]
	;; [unrolled: 1-line block ×8, first 2 shown]
	v_add_f64_e32 v[37:38], v[7:8], v[3:4]
	v_add_f64_e64 v[2:3], v[7:8], -v[3:4]
	v_add_f64_e32 v[7:8], v[9:10], v[5:6]
	v_add_f64_e64 v[4:5], v[9:10], -v[5:6]
	v_mul_i32_i24_e32 v39, 0x60, v68
	v_mul_i32_i24_e32 v6, 0x60, v67
	s_delay_alu instid0(VALU_DEP_2) | instskip(NEXT) | instid1(VALU_DEP_1)
	v_add3_u32 v67, 0, v39, v88
	v_add_nc_u32_e32 v73, 0x800, v67
	v_add_nc_u32_e32 v74, 0x1400, v67
	v_add_f64_e32 v[9:10], v[25:26], v[53:54]
	v_add_f64_e32 v[42:43], v[15:16], v[57:58]
	v_add_f64_e64 v[25:26], v[25:26], -v[53:54]
	v_add_f64_e64 v[15:16], v[15:16], -v[57:58]
	v_add_f64_e32 v[44:45], v[59:60], v[61:62]
	v_add_f64_e32 v[47:48], v[17:18], v[65:66]
	v_add_f64_e64 v[51:52], v[59:60], -v[61:62]
	v_add_f64_e64 v[17:18], v[17:18], -v[65:66]
	v_add_f64_e32 v[61:62], v[40:41], v[13:14]
	v_add_f64_e64 v[13:14], v[40:41], -v[13:14]
	v_add_f64_e32 v[39:40], v[27:28], v[29:30]
	;; [unrolled: 2-line block ×3, first 2 shown]
	v_add_f64_e32 v[63:64], v[23:24], v[33:34]
	v_add3_u32 v66, 0, v6, v88
	v_add_f64_e64 v[19:20], v[31:32], -v[19:20]
	v_add_f64_e64 v[23:24], v[23:24], -v[33:34]
	v_add_f64_e32 v[31:32], v[35:36], v[11:12]
	v_add_f64_e32 v[33:34], v[0:1], v[21:22]
	v_add_f64_e64 v[35:36], v[35:36], -v[11:12]
	v_add_f64_e64 v[21:22], v[0:1], -v[21:22]
	v_mul_u32_u24_e32 v53, 0x60, v81
	v_add_nc_u32_e32 v68, 0x800, v66
	v_add_nc_u32_e32 v72, 0x1400, v66
	ds_store_2addr_b64 v66, v[37:38], v[9:10] offset1:168
	ds_store_2addr_b64 v68, v[42:43], v[2:3] offset0:80 offset1:248
	ds_store_2addr_b64 v72, v[25:26], v[15:16] offset0:32 offset1:200
	ds_store_2addr_b64 v67, v[7:8], v[44:45] offset1:168
	ds_store_2addr_b64 v73, v[47:48], v[4:5] offset0:80 offset1:248
	ds_store_2addr_b64 v74, v[51:52], v[17:18] offset0:32 offset1:200
	v_add3_u32 v65, 0, v53, v88
	global_wb scope:SCOPE_SE
	s_wait_dscnt 0x0
	s_barrier_signal -1
	s_barrier_wait -1
	global_inv scope:SCOPE_SE
	ds_load_2addr_b64 v[8:11], v70 offset0:48 offset1:216
	ds_load_b64 v[57:58], v84
	ds_load_b64 v[55:56], v85
	ds_load_2addr_b64 v[0:3], v69 offset0:64 offset1:232
	ds_load_b64 v[59:60], v87
	ds_load_b64 v[47:48], v86
	ds_load_2addr_b64 v[4:7], v71 offset0:16 offset1:184
	ds_load_b64 v[53:54], v65
	ds_load_b64 v[51:52], v65 offset:2688
	global_wb scope:SCOPE_SE
	s_wait_dscnt 0x0
	s_barrier_signal -1
	s_barrier_wait -1
	global_inv scope:SCOPE_SE
	ds_store_2addr_b64 v66, v[61:62], v[29:30] offset1:168
	ds_store_2addr_b64 v68, v[63:64], v[13:14] offset0:80 offset1:248
	ds_store_2addr_b64 v72, v[19:20], v[23:24] offset0:32 offset1:200
	ds_store_2addr_b64 v67, v[39:40], v[31:32] offset1:168
	ds_store_2addr_b64 v73, v[33:34], v[27:28] offset0:80 offset1:248
	ds_store_2addr_b64 v74, v[35:36], v[21:22] offset0:32 offset1:200
	global_wb scope:SCOPE_SE
	s_wait_dscnt 0x0
	s_barrier_signal -1
	s_barrier_wait -1
	global_inv scope:SCOPE_SE
	s_and_saveexec_b32 s5, s1
	s_cbranch_execz .LBB0_39
; %bb.38:
	v_mul_hi_u32 v66, 0x30c30c4, v83
	v_mul_hi_u32 v67, 0x30c30c4, v82
	v_mul_hi_u32 v68, 0x30c30c4, v81
	s_add_co_i32 s1, 0, 0x3f00
	v_add_nc_u32_e32 v72, 0x54, v80
	v_add_nc_u32_e32 v160, 0x54, v79
	v_mul_lo_u32 v138, v79, v50
	v_add_nc_u32_e32 v49, s4, v49
	v_mul_u32_u24_e32 v12, 0x54, v66
	v_mul_u32_u24_e32 v13, 0x54, v67
	;; [unrolled: 1-line block ×3, first 2 shown]
	v_mul_lo_u32 v76, v72, v50
	v_mad_u32_u24 v67, 0x54, v67, v82
	v_sub_nc_u32_e32 v73, v83, v12
	v_sub_nc_u32_e32 v75, v82, v13
	;; [unrolled: 1-line block ×3, first 2 shown]
	s_delay_alu instid0(VALU_DEP_3) | instskip(SKIP_1) | instid1(VALU_DEP_4)
	v_mul_lo_u32 v12, v73, v50
	v_add_nc_u32_e32 v13, 0x54, v73
	v_mul_lo_u32 v14, v75, v50
	v_add_nc_u32_e32 v16, 0x54, v75
	;; [unrolled: 2-line block ×3, first 2 shown]
	v_mul_lo_u32 v15, v13, v50
	v_lshrrev_b32_e32 v132, 2, v76
	v_lshrrev_b32_e32 v18, 2, v12
	v_mul_lo_u32 v13, v16, v50
	v_and_b32_e32 v16, 63, v12
	v_mul_lo_u32 v61, v17, v50
	v_lshrrev_b32_e32 v17, 2, v14
	v_and_b32_e32 v18, 0x3f0, v18
	v_lshrrev_b32_e32 v20, 2, v62
	v_lshl_add_u32 v16, v16, 4, 0
	v_and_b32_e32 v19, 63, v14
	v_and_b32_e32 v17, 0x3f0, v17
	s_wait_alu 0xfffe
	v_add_nc_u32_e32 v18, s1, v18
	v_and_b32_e32 v24, 63, v62
	v_and_b32_e32 v25, 0x3f0, v20
	v_lshl_add_u32 v19, v19, 4, 0
	ds_load_b128 v[20:23], v16 offset:16128
	ds_load_b128 v[28:31], v18 offset:1024
	v_add_nc_u32_e32 v16, s1, v17
	v_lshl_add_u32 v17, v24, 4, 0
	v_add_nc_u32_e32 v18, s1, v25
	v_lshrrev_b32_e32 v44, 2, v15
	ds_load_b128 v[32:35], v19 offset:16128
	ds_load_b128 v[40:43], v16 offset:1024
	;; [unrolled: 1-line block ×4, first 2 shown]
	v_lshrrev_b32_e32 v17, 2, v13
	v_and_b32_e32 v16, 63, v15
	v_and_b32_e32 v19, 63, v13
	v_and_b32_e32 v18, 0x3f0, v44
	v_lshrrev_b32_e32 v12, 8, v12
	v_and_b32_e32 v17, 0x3f0, v17
	v_lshl_add_u32 v16, v16, 4, 0
	v_lshrrev_b32_e32 v14, 8, v14
	v_add_nc_u32_e32 v18, s1, v18
	v_lshrrev_b32_e32 v15, 8, v15
	v_add_nc_u32_e32 v17, s1, v17
	ds_load_b128 v[88:91], v16 offset:16128
	v_lshrrev_b32_e32 v13, 8, v13
	ds_load_b128 v[92:95], v18 offset:1024
	s_wait_dscnt 0x6
	v_mul_f64_e32 v[63:64], v[22:23], v[30:31]
	v_mul_f64_e32 v[30:31], v[20:21], v[30:31]
	ds_load_b128 v[100:103], v17 offset:1024
	v_lshl_add_u32 v16, v19, 4, 0
	s_wait_dscnt 0x5
	v_mul_f64_e32 v[116:117], v[34:35], v[42:43]
	v_mul_f64_e32 v[118:119], v[32:33], v[42:43]
	s_wait_dscnt 0x3
	v_mul_f64_e32 v[120:121], v[26:27], v[38:39]
	v_mul_f64_e32 v[38:39], v[24:25], v[38:39]
	ds_load_b128 v[96:99], v16 offset:16128
	v_lshrrev_b32_e32 v16, 2, v61
	v_and_b32_e32 v12, 0x3f0, v12
	v_and_b32_e32 v17, 63, v61
	;; [unrolled: 1-line block ×6, first 2 shown]
	v_add_nc_u32_e32 v12, s1, v12
	v_add_nc_u32_e32 v18, s1, v18
	v_lshl_add_u32 v108, v17, 4, 0
	s_wait_dscnt 0x2
	v_mul_f64_e32 v[122:123], v[90:91], v[94:95]
	v_add_nc_u32_e32 v112, s1, v16
	v_add_nc_u32_e32 v15, s1, v15
	;; [unrolled: 1-line block ×3, first 2 shown]
	v_mul_f64_e32 v[94:95], v[88:89], v[94:95]
	ds_load_b128 v[104:107], v12 offset:2048
	ds_load_b128 v[12:15], v15 offset:2048
	;; [unrolled: 1-line block ×6, first 2 shown]
	s_wait_dscnt 0x6
	v_mul_f64_e32 v[124:125], v[98:99], v[102:103]
	v_mul_f64_e32 v[102:103], v[96:97], v[102:103]
	v_lshrrev_b32_e32 v62, 8, v62
	v_lshrrev_b32_e32 v61, 8, v61
	v_fma_f64 v[126:127], v[20:21], v[28:29], -v[63:64]
	v_and_b32_e32 v20, 63, v76
	s_delay_alu instid0(VALU_DEP_4)
	v_and_b32_e32 v21, 0x3f0, v62
	v_fma_f64 v[128:129], v[22:23], v[28:29], v[30:31]
	v_and_b32_e32 v22, 0x3f0, v61
	v_and_b32_e32 v23, 0x3f0, v132
	v_lshl_add_u32 v28, v20, 4, 0
	v_add_nc_u32_e32 v21, s1, v21
	v_mul_lo_u32 v30, v80, v50
	v_add_nc_u32_e32 v22, s1, v22
	v_add_nc_u32_e32 v29, s1, v23
	v_fma_f64 v[130:131], v[32:33], v[40:41], -v[116:117]
	v_fma_f64 v[63:64], v[34:35], v[40:41], v[118:119]
	v_fma_f64 v[61:62], v[24:25], v[36:37], -v[120:121]
	v_fma_f64 v[38:39], v[26:27], v[36:37], v[38:39]
	ds_load_b128 v[24:27], v21 offset:2048
	ds_load_b128 v[20:23], v22 offset:2048
	s_wait_dscnt 0x2
	v_mul_f64_e32 v[32:33], v[110:111], v[114:115]
	v_mul_f64_e32 v[40:41], v[108:109], v[114:115]
	ds_load_b128 v[114:117], v28 offset:16128
	ds_load_b128 v[118:121], v29 offset:1024
	v_lshrrev_b32_e32 v31, 2, v30
	v_lshrrev_b32_e32 v36, 8, v30
	;; [unrolled: 1-line block ×3, first 2 shown]
	v_and_b32_e32 v76, 63, v30
	v_fma_f64 v[28:29], v[88:89], v[92:93], -v[122:123]
	v_and_b32_e32 v88, 0x3f0, v31
	v_and_b32_e32 v36, 0x3f0, v36
	;; [unrolled: 1-line block ×3, first 2 shown]
	v_lshl_add_u32 v76, v76, 4, 0
	v_fma_f64 v[34:35], v[90:91], v[92:93], v[94:95]
	v_add_nc_u32_e32 v92, s1, v88
	v_fma_f64 v[30:31], v[96:97], v[100:101], -v[124:125]
	v_add_nc_u32_e32 v96, s1, v36
	v_add_nc_u32_e32 v122, s1, v37
	v_fma_f64 v[36:37], v[98:99], v[100:101], v[102:103]
	ds_load_b128 v[88:91], v76 offset:16128
	ds_load_b128 v[92:95], v92 offset:1024
	;; [unrolled: 1-line block ×4, first 2 shown]
	v_mul_lo_u32 v76, v160, v50
	s_wait_dscnt 0x4
	v_mul_f64_e32 v[122:123], v[116:117], v[120:121]
	v_mul_f64_e32 v[120:121], v[114:115], v[120:121]
	s_wait_dscnt 0x2
	v_mul_f64_e32 v[124:125], v[90:91], v[94:95]
	v_mul_f64_e32 v[94:95], v[88:89], v[94:95]
	v_fma_f64 v[32:33], v[108:109], v[112:113], -v[32:33]
	v_lshrrev_b32_e32 v108, 2, v76
	v_and_b32_e32 v109, 63, v76
	v_fma_f64 v[40:41], v[110:111], v[112:113], v[40:41]
	v_lshrrev_b32_e32 v76, 8, v76
	s_delay_alu instid0(VALU_DEP_4) | instskip(NEXT) | instid1(VALU_DEP_4)
	v_and_b32_e32 v108, 0x3f0, v108
	v_lshl_add_u32 v109, v109, 4, 0
	s_delay_alu instid0(VALU_DEP_3) | instskip(NEXT) | instid1(VALU_DEP_3)
	v_and_b32_e32 v76, 0x3f0, v76
	v_add_nc_u32_e32 v112, s1, v108
	s_delay_alu instid0(VALU_DEP_2)
	v_add_nc_u32_e32 v76, s1, v76
	v_fma_f64 v[132:133], v[114:115], v[118:119], -v[122:123]
	ds_load_b128 v[108:111], v109 offset:16128
	ds_load_b128 v[112:115], v112 offset:1024
	v_fma_f64 v[134:135], v[116:117], v[118:119], v[120:121]
	v_lshrrev_b32_e32 v116, 8, v138
	v_and_b32_e32 v118, 63, v138
	s_delay_alu instid0(VALU_DEP_2) | instskip(NEXT) | instid1(VALU_DEP_2)
	v_and_b32_e32 v116, 0x3f0, v116
	v_lshl_add_u32 v118, v118, 4, 0
	s_delay_alu instid0(VALU_DEP_2)
	v_add_nc_u32_e32 v116, s1, v116
	v_fma_f64 v[124:125], v[88:89], v[92:93], -v[124:125]
	v_fma_f64 v[136:137], v[90:91], v[92:93], v[94:95]
	ds_load_b128 v[88:91], v116 offset:2048
	ds_load_b128 v[92:95], v76 offset:2048
	v_lshrrev_b32_e32 v76, 2, v138
	s_wait_dscnt 0x2
	v_mul_f64_e32 v[116:117], v[110:111], v[114:115]
	v_mul_f64_e32 v[114:115], v[108:109], v[114:115]
	s_delay_alu instid0(VALU_DEP_3) | instskip(NEXT) | instid1(VALU_DEP_1)
	v_and_b32_e32 v76, 0x3f0, v76
	v_add_nc_u32_e32 v76, s1, v76
	s_delay_alu instid0(VALU_DEP_4) | instskip(NEXT) | instid1(VALU_DEP_4)
	v_fma_f64 v[138:139], v[108:109], v[112:113], -v[116:117]
	v_fma_f64 v[140:141], v[110:111], v[112:113], v[114:115]
	ds_load_b128 v[108:111], v118 offset:16128
	ds_load_b128 v[112:115], v76 offset:1024
	v_mul_lo_u32 v76, v78, v50
	v_mul_lo_u32 v50, v77, v50
	s_wait_dscnt 0x0
	v_mul_f64_e32 v[116:117], v[110:111], v[114:115]
	s_delay_alu instid0(VALU_DEP_1) | instskip(SKIP_1) | instid1(VALU_DEP_1)
	v_fma_f64 v[142:143], v[108:109], v[112:113], -v[116:117]
	v_mul_f64_e32 v[108:109], v[108:109], v[114:115]
	v_fma_f64 v[144:145], v[110:111], v[112:113], v[108:109]
	v_lshrrev_b32_e32 v108, 2, v76
	v_lshrrev_b32_e32 v109, 8, v76
	;; [unrolled: 1-line block ×3, first 2 shown]
	v_and_b32_e32 v76, 63, v76
	s_delay_alu instid0(VALU_DEP_4) | instskip(NEXT) | instid1(VALU_DEP_4)
	v_and_b32_e32 v108, 0x3f0, v108
	v_and_b32_e32 v112, 0x3f0, v109
	s_delay_alu instid0(VALU_DEP_4) | instskip(NEXT) | instid1(VALU_DEP_4)
	v_and_b32_e32 v113, 0x3f0, v110
	v_lshl_add_u32 v76, v76, 4, 0
	s_delay_alu instid0(VALU_DEP_4) | instskip(NEXT) | instid1(VALU_DEP_4)
	v_add_nc_u32_e32 v108, s1, v108
	v_add_nc_u32_e32 v116, s1, v112
	s_delay_alu instid0(VALU_DEP_4)
	v_add_nc_u32_e32 v120, s1, v113
	ds_load_b128 v[108:111], v108 offset:1024
	ds_load_b128 v[112:115], v76 offset:16128
	ds_load_b128 v[116:119], v116 offset:2048
	ds_load_b128 v[120:123], v120 offset:2048
	v_lshrrev_b32_e32 v76, 2, v50
	v_and_b32_e32 v50, 63, v50
	s_delay_alu instid0(VALU_DEP_2) | instskip(NEXT) | instid1(VALU_DEP_2)
	v_and_b32_e32 v76, 0x3f0, v76
	v_lshl_add_u32 v50, v50, 4, 0
	s_delay_alu instid0(VALU_DEP_2) | instskip(SKIP_3) | instid1(VALU_DEP_2)
	v_add_nc_u32_e32 v76, s1, v76
	s_wait_dscnt 0x2
	v_mul_f64_e32 v[146:147], v[114:115], v[110:111]
	v_mul_f64_e32 v[110:111], v[112:113], v[110:111]
	v_fma_f64 v[146:147], v[112:113], v[108:109], -v[146:147]
	s_delay_alu instid0(VALU_DEP_2)
	v_fma_f64 v[148:149], v[114:115], v[108:109], v[110:111]
	ds_load_b128 v[108:111], v50 offset:16128
	ds_load_b128 v[112:115], v76 offset:1024
	v_lshlrev_b32_e32 v50, 4, v79
	s_wait_dscnt 0x0
	v_mul_f64_e32 v[150:151], v[110:111], v[114:115]
	s_delay_alu instid0(VALU_DEP_1) | instskip(SKIP_1) | instid1(VALU_DEP_1)
	v_fma_f64 v[150:151], v[108:109], v[112:113], -v[150:151]
	v_mul_f64_e32 v[108:109], v[108:109], v[114:115]
	v_fma_f64 v[152:153], v[112:113], v[110:111], v[108:109]
	global_load_b128 v[108:111], v50, s[8:9] offset:1312
	ds_load_2addr_b64 v[112:115], v70 offset0:48 offset1:216
	v_add_nc_u32_e32 v50, 0xa80, v65
	s_wait_loadcnt 0x0
	v_mul_f64_e32 v[154:155], v[10:11], v[110:111]
	s_wait_dscnt 0x0
	v_mul_f64_e32 v[110:111], v[114:115], v[110:111]
	s_delay_alu instid0(VALU_DEP_2) | instskip(NEXT) | instid1(VALU_DEP_2)
	v_fma_f64 v[154:155], v[114:115], v[108:109], -v[154:155]
	v_fma_f64 v[114:115], v[10:11], v[108:109], v[110:111]
	v_lshlrev_b32_e32 v10, 4, v77
	global_load_b128 v[108:111], v10, s[8:9] offset:1312
	v_add_f64_e64 v[114:115], v[59:60], -v[114:115]
	s_wait_loadcnt 0x0
	v_mul_f64_e32 v[10:11], v[8:9], v[110:111]
	s_delay_alu instid0(VALU_DEP_1) | instskip(SKIP_1) | instid1(VALU_DEP_1)
	v_fma_f64 v[156:157], v[112:113], v[108:109], -v[10:11]
	v_mul_f64_e32 v[10:11], v[112:113], v[110:111]
	v_fma_f64 v[112:113], v[8:9], v[108:109], v[10:11]
	v_lshlrev_b32_e32 v8, 4, v73
	ds_load_2addr_b64 v[108:111], v71 offset0:16 offset1:184
	global_load_b128 v[8:11], v8, s[8:9] offset:1312
	v_add_f64_e64 v[112:113], v[57:58], -v[112:113]
	s_wait_loadcnt 0x0
	v_mul_f64_e32 v[158:159], v[6:7], v[10:11]
	s_wait_dscnt 0x0
	v_mul_f64_e32 v[10:11], v[110:111], v[10:11]
	s_delay_alu instid0(VALU_DEP_2) | instskip(NEXT) | instid1(VALU_DEP_2)
	v_fma_f64 v[70:71], v[110:111], v[8:9], -v[158:159]
	v_fma_f64 v[110:111], v[6:7], v[8:9], v[10:11]
	v_lshlrev_b32_e32 v6, 4, v75
	global_load_b128 v[6:9], v6, s[8:9] offset:1312
	v_add_f64_e64 v[110:111], v[51:52], -v[110:111]
	s_delay_alu instid0(VALU_DEP_1) | instskip(SKIP_3) | instid1(VALU_DEP_2)
	v_fma_f64 v[51:52], v[51:52], 2.0, -v[110:111]
	s_wait_loadcnt 0x0
	v_mul_f64_e32 v[10:11], v[4:5], v[8:9]
	v_mul_f64_e32 v[8:9], v[108:109], v[8:9]
	v_fma_f64 v[75:76], v[108:109], v[6:7], -v[10:11]
	s_delay_alu instid0(VALU_DEP_2)
	v_fma_f64 v[108:109], v[4:5], v[6:7], v[8:9]
	v_lshlrev_b32_e32 v4, 4, v80
	ds_load_2addr_b64 v[8:11], v69 offset0:64 offset1:232
	v_mad_u32_u24 v69, 0x54, v66, v83
	global_load_b128 v[4:7], v4, s[8:9] offset:1312
	v_add_nc_u32_e32 v83, 0x54, v69
	v_add_f64_e64 v[108:109], v[47:48], -v[108:109]
	s_wait_loadcnt 0x0
	v_mul_f64_e32 v[158:159], v[0:1], v[6:7]
	s_wait_dscnt 0x0
	v_mul_f64_e32 v[6:7], v[8:9], v[6:7]
	s_delay_alu instid0(VALU_DEP_2) | instskip(NEXT) | instid1(VALU_DEP_2)
	v_fma_f64 v[158:159], v[8:9], v[4:5], -v[158:159]
	v_fma_f64 v[0:1], v[0:1], v[4:5], v[6:7]
	v_lshlrev_b32_e32 v4, 4, v74
	global_load_b128 v[4:7], v4, s[8:9] offset:1312
	v_add_f64_e64 v[0:1], v[55:56], -v[0:1]
	s_delay_alu instid0(VALU_DEP_1) | instskip(SKIP_3) | instid1(VALU_DEP_2)
	v_fma_f64 v[55:56], v[55:56], 2.0, -v[0:1]
	s_wait_loadcnt 0x0
	v_mul_f64_e32 v[8:9], v[2:3], v[6:7]
	v_mul_f64_e32 v[6:7], v[10:11], v[6:7]
	v_fma_f64 v[8:9], v[10:11], v[4:5], -v[8:9]
	s_delay_alu instid0(VALU_DEP_2) | instskip(SKIP_3) | instid1(VALU_DEP_3)
	v_fma_f64 v[2:3], v[2:3], v[4:5], v[6:7]
	v_mul_f64_e32 v[4:5], v[136:137], v[98:99]
	v_mul_f64_e32 v[6:7], v[144:145], v[90:91]
	;; [unrolled: 1-line block ×3, first 2 shown]
	v_fma_f64 v[73:74], v[96:97], v[124:125], -v[4:5]
	v_mul_f64_e32 v[4:5], v[124:125], v[98:99]
	v_mul_f64_e32 v[98:99], v[122:123], v[150:151]
	v_mad_co_u64_u32 v[124:125], null, s0, v77, v[49:50]
	v_mad_co_u64_u32 v[77:78], null, s0, v78, v[49:50]
	v_dual_mov_b32 v125, v46 :: v_dual_mov_b32 v78, v46
	s_delay_alu instid0(VALU_DEP_1)
	v_lshlrev_b64_e32 v[77:78], 4, v[77:78]
	v_fma_f64 v[4:5], v[96:97], v[136:137], v[4:5]
	v_fma_f64 v[96:97], v[88:89], v[142:143], -v[6:7]
	v_mul_f64_e32 v[6:7], v[142:143], v[90:91]
	v_mul_f64_e32 v[90:91], v[122:123], v[152:153]
	;; [unrolled: 1-line block ×4, first 2 shown]
	v_fma_f64 v[98:99], v[120:121], v[152:153], v[98:99]
	v_add_f64_e64 v[142:143], v[53:54], -v[2:3]
	v_mul_f64_e32 v[2:3], v[34:35], v[14:15]
	v_fma_f64 v[6:7], v[88:89], v[144:145], v[6:7]
	v_fma_f64 v[88:89], v[116:117], v[146:147], -v[10:11]
	v_mul_f64_e32 v[10:11], v[146:147], v[118:119]
	v_mul_f64_e32 v[118:119], v[128:129], v[106:107]
	;; [unrolled: 1-line block ×3, first 2 shown]
	v_fma_f64 v[90:91], v[120:121], v[150:151], -v[90:91]
	ds_load_b64 v[120:121], v87
	ds_load_b64 v[86:87], v86
	v_fma_f64 v[61:62], v[24:25], v[61:62], -v[122:123]
	v_fma_f64 v[24:25], v[24:25], v[38:39], v[26:27]
	v_mul_f64_e32 v[26:27], v[30:31], v[18:19]
	v_mul_f64_e32 v[38:39], v[32:33], v[22:23]
	;; [unrolled: 1-line block ×3, first 2 shown]
	v_lshlrev_b64_e32 v[122:123], 4, v[124:125]
	v_fma_f64 v[53:54], v[53:54], 2.0, -v[142:143]
	s_wait_dscnt 0x0
	v_add_f64_e64 v[75:76], v[86:87], -v[75:76]
	v_fma_f64 v[10:11], v[116:117], v[148:149], v[10:11]
	v_mul_f64_e32 v[116:117], v[134:135], v[102:103]
	v_mul_f64_e32 v[102:103], v[132:133], v[102:103]
	v_fma_f64 v[118:119], v[104:105], v[126:127], -v[118:119]
	v_fma_f64 v[104:105], v[104:105], v[128:129], v[106:107]
	ds_load_b64 v[106:107], v85
	ds_load_b64 v[84:85], v84
	v_mad_co_u64_u32 v[126:127], null, s0, v79, v[49:50]
	v_mad_co_u64_u32 v[128:129], null, s0, v160, v[49:50]
	v_mov_b32_e32 v127, v46
	v_mov_b32_e32 v129, v46
	s_delay_alu instid0(VALU_DEP_2)
	v_lshlrev_b64_e32 v[124:125], 4, v[126:127]
	s_wait_dscnt 0x1
	v_add_f64_e64 v[136:137], v[106:107], -v[158:159]
	v_fma_f64 v[116:117], v[100:101], v[132:133], -v[116:117]
	v_fma_f64 v[100:101], v[100:101], v[134:135], v[102:103]
	v_mul_f64_e32 v[102:103], v[140:141], v[94:95]
	v_mul_f64_e32 v[94:95], v[138:139], v[94:95]
	;; [unrolled: 1-line block ×4, first 2 shown]
	v_fma_f64 v[18:19], v[20:21], v[40:41], v[38:39]
	v_fma_f64 v[38:39], v[57:58], 2.0, -v[112:113]
	v_fma_f64 v[57:58], v[59:60], 2.0, -v[114:115]
	v_mul_f64_e32 v[152:153], v[51:52], v[104:105]
	v_fma_f64 v[102:103], v[92:93], v[138:139], -v[102:103]
	v_fma_f64 v[92:93], v[92:93], v[140:141], v[94:95]
	v_mul_f64_e32 v[94:95], v[63:64], v[44:45]
	v_mul_f64_e32 v[44:45], v[130:131], v[44:45]
	s_wait_dscnt 0x0
	v_add_f64_e64 v[138:139], v[84:85], -v[156:157]
	v_add_f64_e64 v[140:141], v[120:121], -v[154:155]
	s_delay_alu instid0(VALU_DEP_4) | instskip(NEXT) | instid1(VALU_DEP_4)
	v_fma_f64 v[94:95], v[42:43], v[130:131], -v[94:95]
	v_fma_f64 v[42:43], v[42:43], v[63:64], v[44:45]
	v_mad_co_u64_u32 v[44:45], null, s0, v80, v[49:50]
	ds_load_b64 v[79:80], v65
	ds_load_b64 v[130:131], v50
	v_mad_co_u64_u32 v[63:64], null, s0, v72, v[49:50]
	v_mad_u32_u24 v50, 0x54, v68, v81
	v_fma_f64 v[40:41], v[84:85], 2.0, -v[138:139]
	v_fma_f64 v[59:60], v[120:121], 2.0, -v[140:141]
	v_dual_mov_b32 v45, v46 :: v_dual_mov_b32 v64, v46
	s_delay_alu instid0(VALU_DEP_4)
	v_add_nc_u32_e32 v72, 0x54, v50
	v_mad_co_u64_u32 v[65:66], null, s0, v50, v[49:50]
	v_add_nc_u32_e32 v50, 0x54, v67
	v_mov_b32_e32 v66, v46
	v_fma_f64 v[85:86], v[86:87], 2.0, -v[75:76]
	v_fma_f64 v[120:121], v[12:13], v[28:29], -v[2:3]
	v_mul_f64_e32 v[28:29], v[138:139], v[10:11]
	v_mad_co_u64_u32 v[81:82], null, s0, v69, v[49:50]
	v_mad_co_u64_u32 v[67:68], null, s0, v67, v[49:50]
	s_wait_dscnt 0x1
	v_add_f64_e64 v[144:145], v[79:80], -v[8:9]
	s_wait_dscnt 0x0
	v_add_f64_e64 v[69:70], v[130:131], -v[70:71]
	v_fma_f64 v[8:9], v[16:17], v[36:37], v[26:27]
	v_fma_f64 v[26:27], v[12:13], v[34:35], v[134:135]
	v_mul_f64_e32 v[34:35], v[0:1], v[100:101]
	v_mul_f64_e32 v[36:37], v[136:137], v[100:101]
	v_mad_co_u64_u32 v[126:127], null, s0, v72, v[49:50]
	v_mad_co_u64_u32 v[132:133], null, s0, v50, v[49:50]
	;; [unrolled: 1-line block ×3, first 2 shown]
	v_fma_f64 v[83:84], v[106:107], 2.0, -v[136:137]
	v_mov_b32_e32 v68, v46
	v_dual_mov_b32 v82, v46 :: v_dual_mov_b32 v127, v46
	v_dual_mov_b32 v133, v46 :: v_dual_mov_b32 v50, v46
	v_fma_f64 v[46:47], v[47:48], 2.0, -v[108:109]
	v_add_co_u32 v71, vcc_lo, s2, v122
	s_wait_alu 0xfffd
	v_add_co_ci_u32_e32 v72, vcc_lo, s3, v123, vcc_lo
	v_fma_f64 v[12:13], v[16:17], v[30:31], -v[14:15]
	v_fma_f64 v[16:17], v[20:21], v[32:33], -v[22:23]
	v_mul_f64_e32 v[22:23], v[112:113], v[10:11]
	v_add_co_u32 v77, vcc_lo, s2, v77
	v_mul_f64_e32 v[14:15], v[114:115], v[92:93]
	v_mul_f64_e32 v[20:21], v[140:141], v[92:93]
	s_wait_alu 0xfffd
	v_add_co_ci_u32_e32 v78, vcc_lo, s3, v78, vcc_lo
	v_add_co_u32 v122, vcc_lo, s2, v124
	s_wait_alu 0xfffd
	v_add_co_ci_u32_e32 v123, vcc_lo, s3, v125, vcc_lo
	v_mul_f64_e32 v[92:93], v[142:143], v[18:19]
	v_mul_f64_e32 v[150:151], v[85:86], v[42:43]
	v_fma_f64 v[79:80], v[79:80], 2.0, -v[144:145]
	v_fma_f64 v[100:101], v[130:131], 2.0, -v[69:70]
	v_mul_f64_e32 v[30:31], v[108:109], v[8:9]
	v_mul_f64_e32 v[32:33], v[75:76], v[8:9]
	v_fma_f64 v[2:3], v[136:137], v[116:117], -v[34:35]
	v_fma_f64 v[0:1], v[0:1], v[116:117], v[36:37]
	v_mul_f64_e32 v[34:35], v[38:39], v[98:99]
	v_mul_f64_e32 v[36:37], v[40:41], v[98:99]
	;; [unrolled: 1-line block ×8, first 2 shown]
	v_lshlrev_b64_e32 v[106:107], 4, v[128:129]
	v_mul_f64_e32 v[128:129], v[110:111], v[26:27]
	v_mul_f64_e32 v[154:155], v[69:70], v[26:27]
	v_fma_f64 v[8:9], v[112:113], v[88:89], v[28:29]
	v_mul_f64_e32 v[148:149], v[46:47], v[42:43]
	v_lshlrev_b64_e32 v[44:45], 4, v[44:45]
	v_add_co_u32 v106, vcc_lo, s2, v106
	s_wait_alu 0xfffd
	v_add_co_ci_u32_e32 v107, vcc_lo, s3, v107, vcc_lo
	v_lshlrev_b64_e32 v[63:64], 4, v[63:64]
	v_fma_f64 v[10:11], v[138:139], v[88:89], -v[22:23]
	v_add_co_u32 v156, vcc_lo, s2, v44
	v_fma_f64 v[6:7], v[140:141], v[102:103], -v[14:15]
	v_fma_f64 v[4:5], v[114:115], v[102:103], v[20:21]
	s_wait_alu 0xfffd
	v_add_co_ci_u32_e32 v157, vcc_lo, s3, v45, vcc_lo
	v_lshlrev_b64_e32 v[65:66], 4, v[65:66]
	v_add_co_u32 v63, vcc_lo, s2, v63
	v_lshlrev_b64_e32 v[67:68], 4, v[67:68]
	v_fma_f64 v[18:19], v[144:145], v[16:17], -v[92:93]
	s_wait_alu 0xfffd
	v_add_co_ci_u32_e32 v64, vcc_lo, s3, v64, vcc_lo
	v_mul_f64_e32 v[146:147], v[79:80], v[24:25]
	v_mul_f64_e32 v[104:105], v[100:101], v[104:105]
	v_fma_f64 v[14:15], v[75:76], v[12:13], -v[30:31]
	v_fma_f64 v[12:13], v[108:109], v[12:13], v[32:33]
	v_lshlrev_b64_e32 v[81:82], 4, v[81:82]
	v_fma_f64 v[26:27], v[40:41], v[90:91], -v[34:35]
	v_fma_f64 v[24:25], v[38:39], v[90:91], v[36:37]
	v_fma_f64 v[30:31], v[59:60], v[96:97], -v[98:99]
	v_fma_f64 v[28:29], v[57:58], v[96:97], v[116:117]
	v_fma_f64 v[34:35], v[83:84], v[73:74], -v[130:131]
	v_fma_f64 v[38:39], v[79:80], v[61:62], -v[136:137]
	v_fma_f64 v[32:33], v[55:56], v[73:74], v[134:135]
	v_fma_f64 v[16:17], v[142:143], v[16:17], v[124:125]
	;; [unrolled: 1-line block ×3, first 2 shown]
	v_fma_f64 v[46:47], v[100:101], v[118:119], -v[152:153]
	v_fma_f64 v[22:23], v[69:70], v[120:121], -v[128:129]
	v_fma_f64 v[20:21], v[110:111], v[120:121], v[154:155]
	v_fma_f64 v[42:43], v[85:86], v[94:95], -v[148:149]
	v_lshlrev_b64_e32 v[126:127], 4, v[126:127]
	v_lshlrev_b64_e32 v[48:49], 4, v[49:50]
	v_fma_f64 v[36:37], v[53:54], v[61:62], v[146:147]
	v_fma_f64 v[44:45], v[51:52], v[118:119], v[104:105]
	v_add_co_u32 v53, vcc_lo, s2, v65
	s_wait_alu 0xfffd
	v_add_co_ci_u32_e32 v54, vcc_lo, s3, v66, vcc_lo
	v_add_co_u32 v55, vcc_lo, s2, v67
	s_wait_alu 0xfffd
	v_add_co_ci_u32_e32 v56, vcc_lo, s3, v68, vcc_lo
	v_lshlrev_b64_e32 v[51:52], 4, v[132:133]
	v_add_co_u32 v57, vcc_lo, s2, v81
	s_wait_alu 0xfffd
	v_add_co_ci_u32_e32 v58, vcc_lo, s3, v82, vcc_lo
	v_add_co_u32 v59, vcc_lo, s2, v126
	s_wait_alu 0xfffd
	v_add_co_ci_u32_e32 v60, vcc_lo, s3, v127, vcc_lo
	;; [unrolled: 3-line block ×4, first 2 shown]
	s_clause 0xb
	global_store_b128 v[71:72], v[24:27], off
	global_store_b128 v[77:78], v[8:11], off
	;; [unrolled: 1-line block ×12, first 2 shown]
.LBB0_39:
	s_nop 0
	s_sendmsg sendmsg(MSG_DEALLOC_VGPRS)
	s_endpgm
	.section	.rodata,"a",@progbits
	.p2align	6, 0x0
	.amdhsa_kernel fft_rtc_back_len168_factors_2_7_6_2_wgs_168_tpt_14_halfLds_dim2_dp_ip_CI_sbcc_twdbase6_3step_dirReg_intrinsicReadWrite
		.amdhsa_group_segment_fixed_size 0
		.amdhsa_private_segment_fixed_size 0
		.amdhsa_kernarg_size 88
		.amdhsa_user_sgpr_count 2
		.amdhsa_user_sgpr_dispatch_ptr 0
		.amdhsa_user_sgpr_queue_ptr 0
		.amdhsa_user_sgpr_kernarg_segment_ptr 1
		.amdhsa_user_sgpr_dispatch_id 0
		.amdhsa_user_sgpr_private_segment_size 0
		.amdhsa_wavefront_size32 1
		.amdhsa_uses_dynamic_stack 0
		.amdhsa_enable_private_segment 0
		.amdhsa_system_sgpr_workgroup_id_x 1
		.amdhsa_system_sgpr_workgroup_id_y 0
		.amdhsa_system_sgpr_workgroup_id_z 0
		.amdhsa_system_sgpr_workgroup_info 0
		.amdhsa_system_vgpr_workitem_id 0
		.amdhsa_next_free_vgpr 161
		.amdhsa_next_free_sgpr 28
		.amdhsa_reserve_vcc 1
		.amdhsa_float_round_mode_32 0
		.amdhsa_float_round_mode_16_64 0
		.amdhsa_float_denorm_mode_32 3
		.amdhsa_float_denorm_mode_16_64 3
		.amdhsa_fp16_overflow 0
		.amdhsa_workgroup_processor_mode 1
		.amdhsa_memory_ordered 1
		.amdhsa_forward_progress 0
		.amdhsa_round_robin_scheduling 0
		.amdhsa_exception_fp_ieee_invalid_op 0
		.amdhsa_exception_fp_denorm_src 0
		.amdhsa_exception_fp_ieee_div_zero 0
		.amdhsa_exception_fp_ieee_overflow 0
		.amdhsa_exception_fp_ieee_underflow 0
		.amdhsa_exception_fp_ieee_inexact 0
		.amdhsa_exception_int_div_zero 0
	.end_amdhsa_kernel
	.text
.Lfunc_end0:
	.size	fft_rtc_back_len168_factors_2_7_6_2_wgs_168_tpt_14_halfLds_dim2_dp_ip_CI_sbcc_twdbase6_3step_dirReg_intrinsicReadWrite, .Lfunc_end0-fft_rtc_back_len168_factors_2_7_6_2_wgs_168_tpt_14_halfLds_dim2_dp_ip_CI_sbcc_twdbase6_3step_dirReg_intrinsicReadWrite
                                        ; -- End function
	.section	.AMDGPU.csdata,"",@progbits
; Kernel info:
; codeLenInByte = 10100
; NumSgprs: 30
; NumVgprs: 161
; ScratchSize: 0
; MemoryBound: 0
; FloatMode: 240
; IeeeMode: 1
; LDSByteSize: 0 bytes/workgroup (compile time only)
; SGPRBlocks: 3
; VGPRBlocks: 20
; NumSGPRsForWavesPerEU: 30
; NumVGPRsForWavesPerEU: 161
; Occupancy: 9
; WaveLimiterHint : 1
; COMPUTE_PGM_RSRC2:SCRATCH_EN: 0
; COMPUTE_PGM_RSRC2:USER_SGPR: 2
; COMPUTE_PGM_RSRC2:TRAP_HANDLER: 0
; COMPUTE_PGM_RSRC2:TGID_X_EN: 1
; COMPUTE_PGM_RSRC2:TGID_Y_EN: 0
; COMPUTE_PGM_RSRC2:TGID_Z_EN: 0
; COMPUTE_PGM_RSRC2:TIDIG_COMP_CNT: 0
	.text
	.p2alignl 7, 3214868480
	.fill 96, 4, 3214868480
	.type	__hip_cuid_1f8f4573e386b,@object ; @__hip_cuid_1f8f4573e386b
	.section	.bss,"aw",@nobits
	.globl	__hip_cuid_1f8f4573e386b
__hip_cuid_1f8f4573e386b:
	.byte	0                               ; 0x0
	.size	__hip_cuid_1f8f4573e386b, 1

	.ident	"AMD clang version 19.0.0git (https://github.com/RadeonOpenCompute/llvm-project roc-6.4.0 25133 c7fe45cf4b819c5991fe208aaa96edf142730f1d)"
	.section	".note.GNU-stack","",@progbits
	.addrsig
	.addrsig_sym __hip_cuid_1f8f4573e386b
	.amdgpu_metadata
---
amdhsa.kernels:
  - .args:
      - .actual_access:  read_only
        .address_space:  global
        .offset:         0
        .size:           8
        .value_kind:     global_buffer
      - .address_space:  global
        .offset:         8
        .size:           8
        .value_kind:     global_buffer
      - .actual_access:  read_only
        .address_space:  global
        .offset:         16
        .size:           8
        .value_kind:     global_buffer
      - .actual_access:  read_only
        .address_space:  global
        .offset:         24
        .size:           8
        .value_kind:     global_buffer
      - .offset:         32
        .size:           8
        .value_kind:     by_value
      - .actual_access:  read_only
        .address_space:  global
        .offset:         40
        .size:           8
        .value_kind:     global_buffer
      - .actual_access:  read_only
        .address_space:  global
        .offset:         48
        .size:           8
        .value_kind:     global_buffer
      - .offset:         56
        .size:           4
        .value_kind:     by_value
      - .actual_access:  read_only
        .address_space:  global
        .offset:         64
        .size:           8
        .value_kind:     global_buffer
      - .actual_access:  read_only
        .address_space:  global
        .offset:         72
        .size:           8
        .value_kind:     global_buffer
      - .address_space:  global
        .offset:         80
        .size:           8
        .value_kind:     global_buffer
    .group_segment_fixed_size: 0
    .kernarg_segment_align: 8
    .kernarg_segment_size: 88
    .language:       OpenCL C
    .language_version:
      - 2
      - 0
    .max_flat_workgroup_size: 168
    .name:           fft_rtc_back_len168_factors_2_7_6_2_wgs_168_tpt_14_halfLds_dim2_dp_ip_CI_sbcc_twdbase6_3step_dirReg_intrinsicReadWrite
    .private_segment_fixed_size: 0
    .sgpr_count:     30
    .sgpr_spill_count: 0
    .symbol:         fft_rtc_back_len168_factors_2_7_6_2_wgs_168_tpt_14_halfLds_dim2_dp_ip_CI_sbcc_twdbase6_3step_dirReg_intrinsicReadWrite.kd
    .uniform_work_group_size: 1
    .uses_dynamic_stack: false
    .vgpr_count:     161
    .vgpr_spill_count: 0
    .wavefront_size: 32
    .workgroup_processor_mode: 1
amdhsa.target:   amdgcn-amd-amdhsa--gfx1201
amdhsa.version:
  - 1
  - 2
...

	.end_amdgpu_metadata
